;; amdgpu-corpus repo=ggml-org/llama.cpp kind=compiled arch=gfx1201 opt=O3
	.amdgcn_target "amdgcn-amd-amdhsa--gfx1201"
	.amdhsa_code_object_version 6
	.section	.text._ZL12rwkv_wkv_f32ILi64EEviiiiPKfS1_S1_S1_S1_S1_Pf,"axG",@progbits,_ZL12rwkv_wkv_f32ILi64EEviiiiPKfS1_S1_S1_S1_S1_Pf,comdat
	.globl	_ZL12rwkv_wkv_f32ILi64EEviiiiPKfS1_S1_S1_S1_S1_Pf ; -- Begin function _ZL12rwkv_wkv_f32ILi64EEviiiiPKfS1_S1_S1_S1_S1_Pf
	.p2align	8
	.type	_ZL12rwkv_wkv_f32ILi64EEviiiiPKfS1_S1_S1_S1_S1_Pf,@function
_ZL12rwkv_wkv_f32ILi64EEviiiiPKfS1_S1_S1_S1_S1_Pf: ; @_ZL12rwkv_wkv_f32ILi64EEviiiiPKfS1_S1_S1_S1_S1_Pf
; %bb.0:
	s_load_b128 s[20:23], s[0:1], 0x0
	s_abs_i32 s5, ttmp9
	s_load_b256 s[12:19], s[0:1], 0x10
	s_wait_kmcnt 0x0
	s_abs_i32 s2, s23
	s_delay_alu instid0(SALU_CYCLE_1) | instskip(SKIP_1) | instid1(SALU_CYCLE_2)
	s_cvt_f32_u32 s3, s2
	s_sub_co_i32 s4, 0, s2
	v_rcp_iflag_f32_e32 v1, s3
	s_delay_alu instid0(TRANS32_DEP_1) | instskip(SKIP_2) | instid1(SALU_CYCLE_2)
	v_readfirstlane_b32 s3, v1
	s_mul_f32 s3, s3, 0x4f7ffffe
	s_wait_alu 0xfffe
	s_cvt_u32_f32 s3, s3
	s_wait_alu 0xfffe
	s_delay_alu instid0(SALU_CYCLE_2) | instskip(NEXT) | instid1(SALU_CYCLE_1)
	s_mul_i32 s4, s4, s3
	s_mul_hi_u32 s4, s3, s4
	s_delay_alu instid0(SALU_CYCLE_1)
	s_add_co_i32 s3, s3, s4
	s_xor_b32 s4, ttmp9, s23
	s_wait_alu 0xfffe
	s_mul_hi_u32 s3, s5, s3
	s_ashr_i32 s4, s4, 31
	s_wait_alu 0xfffe
	s_mul_i32 s6, s3, s2
	s_delay_alu instid0(SALU_CYCLE_1)
	s_sub_co_i32 s5, s5, s6
	s_add_co_i32 s6, s3, 1
	s_sub_co_i32 s7, s5, s2
	s_cmp_ge_u32 s5, s2
	s_cselect_b32 s3, s6, s3
	s_cselect_b32 s5, s7, s5
	s_wait_alu 0xfffe
	s_add_co_i32 s6, s3, 1
	s_cmp_ge_u32 s5, s2
	s_cselect_b32 s2, s6, s3
	s_wait_alu 0xfffe
	s_xor_b32 s2, s2, s4
	s_wait_alu 0xfffe
	s_sub_co_i32 s2, s2, s4
	s_load_b256 s[4:11], s[0:1], 0x30
	s_mul_i32 s3, s2, s23
	s_wait_kmcnt 0x0
	s_mul_i32 s10, s22, s2
	s_wait_alu 0xfffe
	s_sub_co_i32 s3, ttmp9, s3
	s_lshl_b32 s10, s10, 6
	s_wait_alu 0xfffe
	s_lshl_b32 s11, s3, 12
	v_lshl_add_u32 v4, s3, 6, v0
	v_add3_u32 v1, s11, s10, v0
	s_abs_i32 s0, s20
	v_lshlrev_b32_e32 v0, 2, v0
	s_cvt_f32_u32 s1, s0
	v_ashrrev_i32_e32 v5, 31, v4
	v_ashrrev_i32_e32 v2, 31, v1
	s_sub_co_i32 s3, 0, s0
	s_delay_alu instid0(VALU_DEP_2) | instskip(NEXT) | instid1(VALU_DEP_2)
	v_lshlrev_b64_e32 v[5:6], 2, v[4:5]
	v_lshlrev_b64_e32 v[2:3], 2, v[1:2]
	s_delay_alu instid0(VALU_DEP_1) | instskip(NEXT) | instid1(VALU_DEP_1)
	v_add_co_u32 v2, vcc_lo, s6, v2
	v_add_co_ci_u32_e64 v3, null, s7, v3, vcc_lo
	s_abs_i32 s6, s21
	s_clause 0x1f
	global_load_b32 v73, v[2:3], off
	global_load_b32 v72, v[2:3], off offset:256
	global_load_b32 v71, v[2:3], off offset:512
	;; [unrolled: 1-line block ×31, first 2 shown]
	s_clause 0x1f
	global_load_b32 v60, v[2:3], off offset:8192
	global_load_b32 v59, v[2:3], off offset:8448
	global_load_b32 v58, v[2:3], off offset:8704
	global_load_b32 v57, v[2:3], off offset:8960
	global_load_b32 v48, v[2:3], off offset:9216
	global_load_b32 v47, v[2:3], off offset:9472
	global_load_b32 v46, v[2:3], off offset:9728
	global_load_b32 v45, v[2:3], off offset:9984
	global_load_b32 v44, v[2:3], off offset:10240
	global_load_b32 v43, v[2:3], off offset:10496
	global_load_b32 v42, v[2:3], off offset:10752
	global_load_b32 v41, v[2:3], off offset:11008
	global_load_b32 v32, v[2:3], off offset:11264
	global_load_b32 v31, v[2:3], off offset:11520
	global_load_b32 v30, v[2:3], off offset:11776
	global_load_b32 v29, v[2:3], off offset:12032
	global_load_b32 v28, v[2:3], off offset:12288
	global_load_b32 v27, v[2:3], off offset:12544
	global_load_b32 v26, v[2:3], off offset:12800
	global_load_b32 v25, v[2:3], off offset:13056
	global_load_b32 v20, v[2:3], off offset:13312
	global_load_b32 v19, v[2:3], off offset:13568
	global_load_b32 v18, v[2:3], off offset:13824
	global_load_b32 v17, v[2:3], off offset:14080
	global_load_b32 v16, v[2:3], off offset:14336
	global_load_b32 v15, v[2:3], off offset:14592
	global_load_b32 v14, v[2:3], off offset:14848
	global_load_b32 v13, v[2:3], off offset:15104
	global_load_b32 v10, v[2:3], off offset:15360
	global_load_b32 v9, v[2:3], off offset:15616
	global_load_b32 v8, v[2:3], off offset:15872
	global_load_b32 v7, v[2:3], off offset:16128
	v_add_co_u32 v2, vcc_lo, s18, v5
	s_wait_alu 0xfffd
	v_add_co_ci_u32_e64 v3, null, s19, v6, vcc_lo
	s_wait_loadcnt 0x0
	s_barrier_signal -1
	s_barrier_wait -1
	global_inv scope:SCOPE_SE
	global_load_b32 v6, v[2:3], off
	v_rcp_iflag_f32_e32 v2, s1
	s_delay_alu instid0(TRANS32_DEP_1) | instskip(SKIP_2) | instid1(SALU_CYCLE_2)
	v_readfirstlane_b32 s1, v2
	s_mul_f32 s1, s1, 0x4f7ffffe
	s_wait_alu 0xfffe
	s_cvt_u32_f32 s1, s1
	s_wait_alu 0xfffe
	s_delay_alu instid0(SALU_CYCLE_2)
	s_mul_i32 s3, s3, s1
	s_wait_alu 0xfffe
	s_mul_hi_u32 s3, s1, s3
	s_wait_alu 0xfffe
	s_add_co_i32 s1, s1, s3
	s_xor_b32 s3, s21, s20
	s_wait_alu 0xfffe
	s_mul_hi_u32 s1, s6, s1
	s_ashr_i32 s3, s3, 31
	s_wait_alu 0xfffe
	s_mul_i32 s7, s1, s0
	s_wait_alu 0xfffe
	s_sub_co_i32 s6, s6, s7
	s_add_co_i32 s7, s1, 1
	s_wait_alu 0xfffe
	s_sub_co_i32 s10, s6, s0
	s_cmp_ge_u32 s6, s0
	s_cselect_b32 s1, s7, s1
	s_wait_alu 0xfffe
	s_cselect_b32 s6, s10, s6
	s_add_co_i32 s7, s1, 1
	s_wait_alu 0xfffe
	s_cmp_ge_u32 s6, s0
	s_cselect_b32 s0, s7, s1
	s_add_co_i32 s1, s2, 1
	s_wait_alu 0xfffe
	s_xor_b32 s0, s0, s3
	s_wait_alu 0xfffe
	s_sub_co_i32 s0, s0, s3
	s_mov_b32 s3, exec_lo
	s_wait_alu 0xfffe
	s_mul_i32 s0, s0, s22
	s_wait_alu 0xfffe
	v_mad_co_u64_u32 v[2:3], null, s0, s2, v[4:5]
	v_mad_co_u64_u32 v[4:5], null, s0, s1, v[4:5]
	s_mov_b32 s2, 0
	s_wait_loadcnt 0x0
	ds_store_b32 v0, v6 offset:768
	s_wait_dscnt 0x0
	s_barrier_signal -1
	s_barrier_wait -1
	global_inv scope:SCOPE_SE
	v_cmpx_lt_i32_e64 v2, v4
	s_cbranch_execz .LBB0_4
; %bb.1:
	v_ashrrev_i32_e32 v3, 31, v2
	v_add_nc_u32_e32 v11, 0x100, v0
	v_add_nc_u32_e32 v12, 0x200, v0
	s_ashr_i32 s23, s22, 31
	s_delay_alu instid0(SALU_CYCLE_1)
	s_lshl_b64 s[0:1], s[22:23], 2
	v_lshlrev_b64_e32 v[5:6], 2, v[2:3]
	v_mov_b32_e32 v3, 0
.LBB0_2:                                ; =>This Inner Loop Header: Depth=1
	s_delay_alu instid0(VALU_DEP_2) | instskip(SKIP_1) | instid1(VALU_DEP_3)
	v_add_co_u32 v74, vcc_lo, s12, v5
	s_wait_alu 0xfffd
	v_add_co_ci_u32_e64 v75, null, s13, v6, vcc_lo
	v_add_co_u32 v76, vcc_lo, s16, v5
	s_wait_alu 0xfffd
	v_add_co_ci_u32_e64 v77, null, s17, v6, vcc_lo
	;; [unrolled: 3-line block ×3, first 2 shown]
	s_wait_loadcnt 0x0
	s_barrier_signal -1
	s_barrier_wait -1
	global_inv scope:SCOPE_SE
	global_load_b32 v69, v[76:77], off
	global_load_b32 v76, v[74:75], off
	;; [unrolled: 1-line block ×3, first 2 shown]
	v_add_co_u32 v74, vcc_lo, s14, v5
	s_wait_alu 0xfffd
	v_add_co_ci_u32_e64 v75, null, s15, v6, vcc_lo
	v_dual_mov_b32 v125, v40 :: v_dual_mov_b32 v124, v39
	v_dual_mov_b32 v123, v38 :: v_dual_mov_b32 v118, v37
	;; [unrolled: 1-line block ×28, first 2 shown]
	s_wait_loadcnt 0x2
	ds_store_b32 v11, v69
	s_wait_loadcnt 0x1
	ds_store_b32 v0, v76
	;; [unrolled: 2-line block ×3, first 2 shown]
	s_wait_dscnt 0x0
	s_barrier_signal -1
	s_barrier_wait -1
	global_inv scope:SCOPE_SE
	global_load_b32 v69, v[74:75], off
	ds_load_b128 v[13:16], v3
	ds_load_b128 v[17:20], v3 offset:16
	ds_load_b128 v[21:24], v3 offset:32
	ds_load_b128 v[25:28], v3 offset:768
	ds_load_b128 v[29:32], v3 offset:784
	ds_load_b128 v[41:44], v3 offset:512
	ds_load_b128 v[45:48], v3 offset:528
	ds_load_b128 v[33:36], v3 offset:48
	ds_load_b128 v[57:60], v3 offset:800
	ds_load_b128 v[134:137], v3 offset:816
	ds_load_b128 v[138:141], v3 offset:544
	ds_load_b128 v[37:40], v3 offset:64
	ds_load_b128 v[142:145], v3 offset:80
	ds_load_b128 v[146:149], v3 offset:96
	ds_load_b128 v[150:153], v3 offset:112
	v_dual_mov_b32 v75, v71 :: v_dual_mov_b32 v74, v70
	v_dual_mov_b32 v77, v73 :: v_dual_mov_b32 v76, v72
	v_dual_mov_b32 v163, v7 :: v_dual_add_nc_u32 v2, s22, v2
	s_wait_loadcnt_dscnt 0x3
	v_mul_f32_e32 v51, v69, v38
	v_mul_f32_e32 v54, v69, v35
	;; [unrolled: 1-line block ×4, first 2 shown]
	s_wait_dscnt 0x1
	v_mul_f32_e32 v35, v69, v147
	v_mul_f32_e32 v38, v69, v144
	;; [unrolled: 1-line block ×6, first 2 shown]
	s_wait_dscnt 0x0
	v_mul_f32_e32 v22, v69, v152
	v_mul_f32_e32 v23, v69, v151
	v_fma_f32 v152, v62, v59, v95
	v_fmac_f32_e32 v62, v95, v140
	v_mul_f32_e32 v64, v69, v21
	v_mul_f32_e32 v21, v69, v153
	v_fma_f32 v153, v61, v60, v94
	v_fmac_f32_e32 v61, v94, v141
	;; [unrolled: 4-line block ×3, first 2 shown]
	v_mul_f32_e32 v70, v69, v16
	v_fma_f32 v147, v67, v30, v92
	v_fmac_f32_e32 v67, v92, v46
	v_mul_f32_e32 v71, v69, v15
	v_mul_f32_e32 v53, v69, v36
	;; [unrolled: 1-line block ×5, first 2 shown]
	v_fma_f32 v145, v70, v28, v74
	v_fmac_f32_e32 v70, v74, v44
	v_mul_f32_e32 v72, v69, v14
	v_fma_f32 v144, v71, v27, v75
	v_fmac_f32_e32 v71, v75, v43
	v_mul_f32_e32 v73, v69, v13
	ds_load_b128 v[13:16], v3 offset:560
	v_mul_f32_e32 v56, v69, v33
	v_mul_f32_e32 v65, v69, v20
	;; [unrolled: 1-line block ×6, first 2 shown]
	v_fma_f32 v143, v72, v26, v76
	v_fmac_f32_e32 v72, v76, v42
	v_fma_f32 v142, v73, v25, v77
	v_fmac_f32_e32 v73, v77, v41
	v_fma_f32 v149, v65, v32, v90
	ds_load_b128 v[25:28], v3 offset:848
	v_fmac_f32_e32 v65, v90, v48
	ds_load_b128 v[41:44], v3 offset:592
	ds_load_b128 v[74:77], v3 offset:608
	v_mul_f32_e32 v36, v69, v146
	v_fma_f32 v146, v68, v29, v93
	v_fmac_f32_e32 v68, v93, v45
	ds_load_b128 v[45:48], v3 offset:864
	ds_load_b128 v[90:93], v3 offset:272
	;; [unrolled: 1-line block ×4, first 2 shown]
	v_fma_f32 v151, v63, v58, v96
	v_fmac_f32_e32 v63, v96, v139
	v_fma_f32 v136, v54, v136, v105
	v_fma_f32 v137, v53, v137, v102
	s_wait_dscnt 0x7
	v_dual_fmac_f32 v54, v105, v15 :: v_dual_fmac_f32 v53, v102, v16
	v_fma_f32 v134, v56, v134, v107
	v_fmac_f32_e32 v56, v107, v13
	v_add_co_u32 v105, vcc_lo, s8, v5
	s_wait_dscnt 0x6
	v_fma_f32 v141, v39, v26, v124
	v_fma_f32 v155, v37, v28, v118
	s_wait_dscnt 0x5
	v_fmac_f32_e32 v37, v118, v44
	v_fma_f32 v140, v40, v25, v125
	s_wait_dscnt 0x3
	v_fma_f32 v156, v35, v46, v116
	v_fmac_f32_e32 v35, v116, v75
	v_fma_f32 v154, v38, v27, v123
	ds_load_b128 v[25:28], v3 offset:256
	v_fmac_f32_e32 v38, v123, v43
	v_fma_f32 v135, v55, v135, v106
	v_fmac_f32_e32 v55, v106, v14
	ds_load_b128 v[13:16], v3 offset:624
	v_fma_f32 v157, v34, v47, v115
	v_fmac_f32_e32 v34, v115, v76
	s_wait_dscnt 0x3
	v_fma_f32 v107, v51, v18, v112
	s_wait_dscnt 0x2
	v_fmac_f32_e32 v51, v112, v30
	s_wait_alu 0xfffd
	v_add_co_ci_u32_e64 v106, null, s9, v6, vcc_lo
	s_wait_alu 0xfffe
	v_add_co_u32 v5, vcc_lo, v5, s0
	s_wait_alu 0xfffd
	v_add_co_ci_u32_e64 v6, null, s1, v6, vcc_lo
	v_cmp_ge_i32_e32 vcc_lo, v2, v4
	s_wait_dscnt 0x1
	v_fma_f32 v142, v25, v142, 0
	s_or_b32 s2, vcc_lo, s2
	s_delay_alu instid0(VALU_DEP_1)
	v_fmac_f32_e32 v142, v26, v143
	v_fma_f32 v139, v49, v20, v110
	v_fmac_f32_e32 v49, v110, v32
	v_fma_f32 v102, v52, v17, v113
	v_fmac_f32_e32 v52, v113, v29
	v_dual_fmac_f32 v142, v27, v144 :: v_dual_fmac_f32 v39, v124, v42
	v_dual_mov_b32 v143, v10 :: v_dual_mov_b32 v144, v9
	s_delay_alu instid0(VALU_DEP_2) | instskip(NEXT) | instid1(VALU_DEP_1)
	v_fmac_f32_e32 v142, v28, v145
	v_dual_mov_b32 v145, v8 :: v_dual_fmac_f32 v142, v90, v146
	v_fma_f32 v158, v33, v48, v114
	v_fmac_f32_e32 v33, v114, v77
	v_fma_f32 v118, v36, v45, v117
	v_fmac_f32_e32 v36, v117, v74
	ds_load_b128 v[74:77], v3 offset:176
	v_fmac_f32_e32 v142, v91, v147
	v_mul_f32_e32 v24, v69, v150
	v_fma_f32 v150, v64, v57, v97
	v_fmac_f32_e32 v64, v97, v138
	ds_load_b128 v[57:60], v3 offset:880
	v_fma_f32 v138, v50, v19, v111
	v_fmac_f32_e32 v50, v111, v31
	ds_load_b128 v[17:20], v3 offset:128
	ds_load_b128 v[29:32], v3 offset:144
	;; [unrolled: 1-line block ×5, first 2 shown]
	v_fmac_f32_e32 v142, v92, v148
	s_delay_alu instid0(VALU_DEP_1)
	v_fmac_f32_e32 v142, v93, v149
	ds_load_b128 v[90:93], v3 offset:304
	s_wait_dscnt 0x4
	v_mul_f32_e32 v48, v69, v29
	v_mul_f32_e32 v47, v69, v30
	v_fmac_f32_e32 v40, v125, v41
	v_mul_f32_e32 v45, v69, v32
	s_wait_dscnt 0x3
	v_mul_f32_e32 v44, v69, v94
	v_mul_f32_e32 v43, v69, v95
	;; [unrolled: 1-line block ×7, first 2 shown]
	ds_load_b128 v[94:97], v3 offset:896
	v_fma_f32 v160, v23, v58, v132
	v_fma_f32 v161, v22, v59, v131
	v_fma_f32 v162, v21, v60, v126
	v_dual_fmac_f32 v23, v132, v14 :: v_dual_fmac_f32 v22, v131, v15
	v_fmac_f32_e32 v21, v126, v16
	v_fma_f32 v159, v24, v57, v133
	v_fmac_f32_e32 v24, v133, v13
	ds_load_b128 v[13:16], v3 offset:208
	s_wait_dscnt 0x4
	v_mul_f32_e32 v25, v69, v113
	v_mul_f32_e32 v46, v69, v31
	;; [unrolled: 1-line block ×3, first 2 shown]
	ds_load_b128 v[74:77], v3 offset:240
	v_mul_f32_e32 v26, v69, v112
	ds_load_b128 v[123:126], v3 offset:656
	s_wait_dscnt 0x1
	v_mul_f32_e32 v10, v69, v74
	v_mul_f32_e32 v9, v69, v75
	;; [unrolled: 1-line block ×4, first 2 shown]
	ds_load_b128 v[74:77], v3 offset:288
	s_wait_dscnt 0x0
	v_fmac_f32_e32 v142, v74, v150
	v_mul_f32_e32 v59, v69, v18
	v_mul_f32_e32 v18, v69, v15
	s_delay_alu instid0(VALU_DEP_3) | instskip(NEXT) | instid1(VALU_DEP_1)
	v_fmac_f32_e32 v142, v75, v151
	v_fmac_f32_e32 v142, v76, v152
	s_delay_alu instid0(VALU_DEP_1)
	v_fmac_f32_e32 v142, v77, v153
	v_mul_f32_e32 v57, v69, v20
	ds_load_b128 v[74:77], v3 offset:320
	v_mul_f32_e32 v20, v69, v13
	v_fmac_f32_e32 v142, v90, v134
	ds_load_b128 v[131:134], v3 offset:928
	v_fmac_f32_e32 v142, v91, v135
	s_delay_alu instid0(VALU_DEP_1) | instskip(NEXT) | instid1(VALU_DEP_1)
	v_fmac_f32_e32 v142, v92, v136
	v_fmac_f32_e32 v142, v93, v137
	ds_load_b128 v[90:93], v3 offset:336
	s_wait_dscnt 0x2
	v_fmac_f32_e32 v142, v74, v102
	v_mul_f32_e32 v58, v69, v19
	v_fma_f32 v102, v59, v95, v80
	s_delay_alu instid0(VALU_DEP_3) | instskip(NEXT) | instid1(VALU_DEP_3)
	v_fmac_f32_e32 v142, v75, v107
	v_fma_f32 v107, v58, v96, v79
	s_delay_alu instid0(VALU_DEP_2)
	v_fmac_f32_e32 v142, v76, v138
	v_mul_f32_e32 v60, v69, v17
	ds_load_b128 v[135:138], v3 offset:480
	v_fmac_f32_e32 v142, v77, v139
	v_mul_f32_e32 v27, v69, v111
	ds_load_b128 v[74:77], v3 offset:352
	s_wait_dscnt 0x2
	v_dual_fmac_f32 v142, v90, v140 :: v_dual_mul_f32 v19, v69, v14
	v_mul_f32_e32 v14, v69, v116
	s_delay_alu instid0(VALU_DEP_2) | instskip(NEXT) | instid1(VALU_DEP_1)
	v_fmac_f32_e32 v142, v91, v141
	v_fmac_f32_e32 v142, v92, v154
	s_delay_alu instid0(VALU_DEP_1)
	v_fmac_f32_e32 v142, v93, v155
	ds_load_b128 v[90:93], v3 offset:368
	v_mul_f32_e32 v17, v69, v16
	v_mul_f32_e32 v16, v69, v114
	s_wait_dscnt 0x1
	v_dual_fmac_f32 v142, v74, v118 :: v_dual_mul_f32 v15, v69, v115
	v_fma_f32 v118, v57, v97, v78
	s_delay_alu instid0(VALU_DEP_2) | instskip(NEXT) | instid1(VALU_DEP_1)
	v_fmac_f32_e32 v142, v75, v156
	v_fmac_f32_e32 v142, v76, v157
	s_delay_alu instid0(VALU_DEP_1)
	v_fmac_f32_e32 v142, v77, v158
	v_mul_f32_e32 v13, v69, v117
	ds_load_b128 v[74:77], v3 offset:384
	ds_load_b128 v[114:117], v3 offset:912
	s_wait_dscnt 0x2
	v_fmac_f32_e32 v142, v90, v159
	s_delay_alu instid0(VALU_DEP_1)
	v_fmac_f32_e32 v142, v91, v160
	v_mul_f32_e32 v28, v69, v110
	v_fma_f32 v69, v60, v94, v81
	ds_load_b128 v[94:97], v3 offset:944
	ds_load_b128 v[110:113], v3 offset:640
	v_fmac_f32_e32 v142, v92, v161
	s_delay_alu instid0(VALU_DEP_1)
	v_fmac_f32_e32 v142, v93, v162
	ds_load_b128 v[90:93], v3 offset:400
	s_wait_dscnt 0x4
	v_fmac_f32_e32 v142, v74, v69
	s_wait_dscnt 0x3
	v_fma_f32 v69, v48, v114, v89
	s_delay_alu instid0(VALU_DEP_2)
	v_fmac_f32_e32 v142, v75, v102
	v_fma_f32 v102, v47, v115, v88
	v_fmac_f32_e32 v47, v88, v124
	s_wait_dscnt 0x1
	v_fmac_f32_e32 v59, v80, v111
	v_fmac_f32_e32 v142, v76, v107
	v_fma_f32 v107, v46, v116, v85
	s_delay_alu instid0(VALU_DEP_2)
	v_dual_fmac_f32 v57, v78, v113 :: v_dual_fmac_f32 v142, v77, v118
	ds_load_b128 v[74:77], v3 offset:416
	v_fma_f32 v118, v45, v117, v84
	ds_load_b128 v[114:117], v3 offset:672
	s_wait_dscnt 0x2
	v_dual_fmac_f32 v45, v84, v126 :: v_dual_fmac_f32 v142, v90, v69
	v_fma_f32 v69, v44, v131, v87
	s_delay_alu instid0(VALU_DEP_2) | instskip(SKIP_1) | instid1(VALU_DEP_2)
	v_fmac_f32_e32 v142, v91, v102
	v_fma_f32 v102, v43, v132, v86
	v_fmac_f32_e32 v142, v92, v107
	v_fma_f32 v107, v42, v133, v83
	s_delay_alu instid0(VALU_DEP_2)
	v_fmac_f32_e32 v142, v93, v118
	ds_load_b128 v[90:93], v3 offset:432
	v_fma_f32 v118, v41, v134, v82
	ds_load_b128 v[131:134], v3 offset:960
	s_wait_dscnt 0x3
	v_fmac_f32_e32 v142, v74, v69
	v_fma_f32 v69, v32, v94, v101
	s_delay_alu instid0(VALU_DEP_2) | instskip(SKIP_1) | instid1(VALU_DEP_2)
	v_fmac_f32_e32 v142, v75, v102
	v_fma_f32 v102, v31, v95, v100
	v_fmac_f32_e32 v142, v76, v107
	v_fma_f32 v107, v30, v96, v99
	s_delay_alu instid0(VALU_DEP_2)
	v_fmac_f32_e32 v142, v77, v118
	ds_load_b128 v[74:77], v3 offset:448
	v_fma_f32 v118, v29, v97, v98
	ds_load_b128 v[94:97], v3 offset:976
	s_wait_dscnt 0x3
	v_fmac_f32_e32 v142, v90, v69
	s_wait_dscnt 0x2
	v_fma_f32 v69, v28, v131, v109
	s_delay_alu instid0(VALU_DEP_2) | instskip(SKIP_1) | instid1(VALU_DEP_2)
	v_fmac_f32_e32 v142, v91, v102
	v_fma_f32 v102, v27, v132, v108
	v_fmac_f32_e32 v142, v92, v107
	v_fma_f32 v107, v26, v133, v104
	s_delay_alu instid0(VALU_DEP_2)
	v_fmac_f32_e32 v142, v93, v118
	ds_load_b128 v[90:93], v3 offset:464
	v_fma_f32 v118, v25, v134, v103
	ds_load_b128 v[131:134], v3 offset:688
	v_fmac_f32_e32 v41, v82, v117
	s_wait_dscnt 0x3
	v_fmac_f32_e32 v142, v74, v69
	v_dual_fmac_f32 v58, v79, v112 :: v_dual_fmac_f32 v43, v86, v115
	s_delay_alu instid0(VALU_DEP_2) | instskip(NEXT) | instid1(VALU_DEP_1)
	v_fmac_f32_e32 v142, v75, v102
	v_fmac_f32_e32 v142, v76, v107
	s_delay_alu instid0(VALU_DEP_1)
	v_fmac_f32_e32 v142, v77, v118
	ds_load_b128 v[74:77], v3 offset:992
	s_wait_dscnt 0x3
	v_fma_f32 v69, v20, v94, v122
	v_fma_f32 v94, v19, v95, v121
	;; [unrolled: 1-line block ×3, first 2 shown]
	s_wait_dscnt 0x1
	v_dual_fmac_f32 v31, v100, v132 :: v_dual_fmac_f32 v60, v81, v110
	v_fmac_f32_e32 v142, v90, v69
	v_fma_f32 v69, v18, v96, v120
	ds_load_b128 v[78:81], v3 offset:704
	ds_load_b128 v[110:113], v3 offset:496
	v_fmac_f32_e32 v29, v98, v134
	v_fmac_f32_e32 v142, v91, v94
	ds_load_b128 v[94:97], v3 offset:1008
	v_fmac_f32_e32 v48, v89, v123
	ds_load_b128 v[88:91], v3 offset:720
	v_fmac_f32_e32 v142, v92, v69
	s_wait_dscnt 0x4
	v_fma_f32 v69, v16, v74, v130
	s_delay_alu instid0(VALU_DEP_2) | instskip(SKIP_1) | instid1(VALU_DEP_2)
	v_fmac_f32_e32 v142, v93, v102
	v_fma_f32 v74, v15, v75, v129
	v_fmac_f32_e32 v142, v135, v69
	v_fma_f32 v69, v14, v76, v128
	s_wait_dscnt 0x3
	v_dual_fmac_f32 v27, v108, v79 :: v_dual_fmac_f32 v44, v87, v114
	s_delay_alu instid0(VALU_DEP_3)
	v_dual_fmac_f32 v25, v103, v81 :: v_dual_fmac_f32 v142, v136, v74
	v_fma_f32 v74, v13, v77, v127
	v_fmac_f32_e32 v46, v85, v125
	ds_load_b128 v[123:126], v3 offset:736
	ds_load_b128 v[84:87], v3 offset:752
	v_fmac_f32_e32 v142, v137, v69
	s_wait_dscnt 0x3
	v_fma_f32 v69, v10, v94, v143
	v_fmac_f32_e32 v26, v104, v80
	s_wait_dscnt 0x2
	v_dual_fmac_f32 v20, v122, v88 :: v_dual_fmac_f32 v19, v121, v89
	v_fmac_f32_e32 v142, v138, v74
	v_fma_f32 v74, v9, v95, v144
	v_dual_fmac_f32 v18, v120, v90 :: v_dual_fmac_f32 v17, v119, v91
	v_fmac_f32_e32 v42, v83, v116
	s_delay_alu instid0(VALU_DEP_4) | instskip(SKIP_1) | instid1(VALU_DEP_2)
	v_fmac_f32_e32 v142, v110, v69
	v_fma_f32 v69, v8, v96, v145
	v_fmac_f32_e32 v142, v111, v74
	v_fma_f32 v74, v7, v97, v163
	s_wait_dscnt 0x1
	v_dual_fmac_f32 v16, v130, v123 :: v_dual_fmac_f32 v15, v129, v124
	s_delay_alu instid0(VALU_DEP_3)
	v_fmac_f32_e32 v142, v112, v69
	v_dual_fmac_f32 v14, v128, v125 :: v_dual_fmac_f32 v13, v127, v126
	v_fmac_f32_e32 v30, v99, v133
	s_wait_dscnt 0x0
	v_dual_fmac_f32 v10, v143, v84 :: v_dual_fmac_f32 v9, v144, v85
	v_fmac_f32_e32 v32, v101, v131
	v_fmac_f32_e32 v8, v145, v86
	v_dual_fmac_f32 v142, v113, v74 :: v_dual_fmac_f32 v7, v163, v87
	v_fmac_f32_e32 v28, v109, v78
	global_store_b32 v[105:106], v142, off
	s_wait_alu 0xfffe
	s_and_not1_b32 exec_lo, exec_lo, s2
	s_cbranch_execnz .LBB0_2
; %bb.3:
	s_or_b32 exec_lo, exec_lo, s2
.LBB0_4:
	s_delay_alu instid0(SALU_CYCLE_1) | instskip(SKIP_1) | instid1(VALU_DEP_1)
	s_or_b32 exec_lo, exec_lo, s3
	v_mad_co_u64_u32 v[0:1], null, s22, s21, v[1:2]
	v_ashrrev_i32_e32 v1, 31, v0
	s_delay_alu instid0(VALU_DEP_1) | instskip(NEXT) | instid1(VALU_DEP_1)
	v_lshlrev_b64_e32 v[0:1], 2, v[0:1]
	v_add_co_u32 v0, vcc_lo, s8, v0
	s_wait_alu 0xfffd
	s_delay_alu instid0(VALU_DEP_2)
	v_add_co_ci_u32_e64 v1, null, s9, v1, vcc_lo
	s_clause 0x1f
	global_store_b32 v[0:1], v73, off
	global_store_b32 v[0:1], v72, off offset:256
	global_store_b32 v[0:1], v71, off offset:512
	;; [unrolled: 1-line block ×31, first 2 shown]
	s_clause 0x1f
	global_store_b32 v[0:1], v60, off offset:8192
	global_store_b32 v[0:1], v59, off offset:8448
	;; [unrolled: 1-line block ×32, first 2 shown]
	s_nop 0
	s_sendmsg sendmsg(MSG_DEALLOC_VGPRS)
	s_endpgm
	.section	.rodata,"a",@progbits
	.p2align	6, 0x0
	.amdhsa_kernel _ZL12rwkv_wkv_f32ILi64EEviiiiPKfS1_S1_S1_S1_S1_Pf
		.amdhsa_group_segment_fixed_size 1024
		.amdhsa_private_segment_fixed_size 0
		.amdhsa_kernarg_size 72
		.amdhsa_user_sgpr_count 2
		.amdhsa_user_sgpr_dispatch_ptr 0
		.amdhsa_user_sgpr_queue_ptr 0
		.amdhsa_user_sgpr_kernarg_segment_ptr 1
		.amdhsa_user_sgpr_dispatch_id 0
		.amdhsa_user_sgpr_private_segment_size 0
		.amdhsa_wavefront_size32 1
		.amdhsa_uses_dynamic_stack 0
		.amdhsa_enable_private_segment 0
		.amdhsa_system_sgpr_workgroup_id_x 1
		.amdhsa_system_sgpr_workgroup_id_y 0
		.amdhsa_system_sgpr_workgroup_id_z 0
		.amdhsa_system_sgpr_workgroup_info 0
		.amdhsa_system_vgpr_workitem_id 0
		.amdhsa_next_free_vgpr 164
		.amdhsa_next_free_sgpr 24
		.amdhsa_reserve_vcc 1
		.amdhsa_float_round_mode_32 0
		.amdhsa_float_round_mode_16_64 0
		.amdhsa_float_denorm_mode_32 3
		.amdhsa_float_denorm_mode_16_64 3
		.amdhsa_fp16_overflow 0
		.amdhsa_workgroup_processor_mode 1
		.amdhsa_memory_ordered 1
		.amdhsa_forward_progress 1
		.amdhsa_inst_pref_size 38
		.amdhsa_round_robin_scheduling 0
		.amdhsa_exception_fp_ieee_invalid_op 0
		.amdhsa_exception_fp_denorm_src 0
		.amdhsa_exception_fp_ieee_div_zero 0
		.amdhsa_exception_fp_ieee_overflow 0
		.amdhsa_exception_fp_ieee_underflow 0
		.amdhsa_exception_fp_ieee_inexact 0
		.amdhsa_exception_int_div_zero 0
	.end_amdhsa_kernel
	.section	.text._ZL12rwkv_wkv_f32ILi64EEviiiiPKfS1_S1_S1_S1_S1_Pf,"axG",@progbits,_ZL12rwkv_wkv_f32ILi64EEviiiiPKfS1_S1_S1_S1_S1_Pf,comdat
.Lfunc_end0:
	.size	_ZL12rwkv_wkv_f32ILi64EEviiiiPKfS1_S1_S1_S1_S1_Pf, .Lfunc_end0-_ZL12rwkv_wkv_f32ILi64EEviiiiPKfS1_S1_S1_S1_S1_Pf
                                        ; -- End function
	.set _ZL12rwkv_wkv_f32ILi64EEviiiiPKfS1_S1_S1_S1_S1_Pf.num_vgpr, 164
	.set _ZL12rwkv_wkv_f32ILi64EEviiiiPKfS1_S1_S1_S1_S1_Pf.num_agpr, 0
	.set _ZL12rwkv_wkv_f32ILi64EEviiiiPKfS1_S1_S1_S1_S1_Pf.numbered_sgpr, 24
	.set _ZL12rwkv_wkv_f32ILi64EEviiiiPKfS1_S1_S1_S1_S1_Pf.num_named_barrier, 0
	.set _ZL12rwkv_wkv_f32ILi64EEviiiiPKfS1_S1_S1_S1_S1_Pf.private_seg_size, 0
	.set _ZL12rwkv_wkv_f32ILi64EEviiiiPKfS1_S1_S1_S1_S1_Pf.uses_vcc, 1
	.set _ZL12rwkv_wkv_f32ILi64EEviiiiPKfS1_S1_S1_S1_S1_Pf.uses_flat_scratch, 0
	.set _ZL12rwkv_wkv_f32ILi64EEviiiiPKfS1_S1_S1_S1_S1_Pf.has_dyn_sized_stack, 0
	.set _ZL12rwkv_wkv_f32ILi64EEviiiiPKfS1_S1_S1_S1_S1_Pf.has_recursion, 0
	.set _ZL12rwkv_wkv_f32ILi64EEviiiiPKfS1_S1_S1_S1_S1_Pf.has_indirect_call, 0
	.section	.AMDGPU.csdata,"",@progbits
; Kernel info:
; codeLenInByte = 4844
; TotalNumSgprs: 26
; NumVgprs: 164
; ScratchSize: 0
; MemoryBound: 0
; FloatMode: 240
; IeeeMode: 1
; LDSByteSize: 1024 bytes/workgroup (compile time only)
; SGPRBlocks: 0
; VGPRBlocks: 20
; NumSGPRsForWavesPerEU: 26
; NumVGPRsForWavesPerEU: 164
; Occupancy: 9
; WaveLimiterHint : 1
; COMPUTE_PGM_RSRC2:SCRATCH_EN: 0
; COMPUTE_PGM_RSRC2:USER_SGPR: 2
; COMPUTE_PGM_RSRC2:TRAP_HANDLER: 0
; COMPUTE_PGM_RSRC2:TGID_X_EN: 1
; COMPUTE_PGM_RSRC2:TGID_Y_EN: 0
; COMPUTE_PGM_RSRC2:TGID_Z_EN: 0
; COMPUTE_PGM_RSRC2:TIDIG_COMP_CNT: 0
	.section	.text._ZL12rwkv_wkv_f32ILi128EEviiiiPKfS1_S1_S1_S1_S1_Pf,"axG",@progbits,_ZL12rwkv_wkv_f32ILi128EEviiiiPKfS1_S1_S1_S1_S1_Pf,comdat
	.globl	_ZL12rwkv_wkv_f32ILi128EEviiiiPKfS1_S1_S1_S1_S1_Pf ; -- Begin function _ZL12rwkv_wkv_f32ILi128EEviiiiPKfS1_S1_S1_S1_S1_Pf
	.p2align	8
	.type	_ZL12rwkv_wkv_f32ILi128EEviiiiPKfS1_S1_S1_S1_S1_Pf,@function
_ZL12rwkv_wkv_f32ILi128EEviiiiPKfS1_S1_S1_S1_S1_Pf: ; @_ZL12rwkv_wkv_f32ILi128EEviiiiPKfS1_S1_S1_S1_S1_Pf
; %bb.0:
	s_load_b128 s[20:23], s[0:1], 0x0
	s_abs_i32 s5, ttmp9
	s_load_b256 s[12:19], s[0:1], 0x10
	s_wait_kmcnt 0x0
	s_abs_i32 s2, s23
	s_delay_alu instid0(SALU_CYCLE_1) | instskip(SKIP_1) | instid1(SALU_CYCLE_2)
	s_cvt_f32_u32 s3, s2
	s_sub_co_i32 s4, 0, s2
	v_rcp_iflag_f32_e32 v1, s3
	s_delay_alu instid0(TRANS32_DEP_1) | instskip(SKIP_2) | instid1(SALU_CYCLE_2)
	v_readfirstlane_b32 s3, v1
	s_mul_f32 s3, s3, 0x4f7ffffe
	s_wait_alu 0xfffe
	s_cvt_u32_f32 s3, s3
	s_wait_alu 0xfffe
	s_delay_alu instid0(SALU_CYCLE_2) | instskip(NEXT) | instid1(SALU_CYCLE_1)
	s_mul_i32 s4, s4, s3
	s_mul_hi_u32 s4, s3, s4
	s_delay_alu instid0(SALU_CYCLE_1)
	s_add_co_i32 s3, s3, s4
	s_xor_b32 s4, ttmp9, s23
	s_wait_alu 0xfffe
	s_mul_hi_u32 s3, s5, s3
	s_ashr_i32 s4, s4, 31
	s_wait_alu 0xfffe
	s_mul_i32 s6, s3, s2
	s_delay_alu instid0(SALU_CYCLE_1)
	s_sub_co_i32 s5, s5, s6
	s_add_co_i32 s6, s3, 1
	s_sub_co_i32 s7, s5, s2
	s_cmp_ge_u32 s5, s2
	s_cselect_b32 s3, s6, s3
	s_cselect_b32 s5, s7, s5
	s_wait_alu 0xfffe
	s_add_co_i32 s6, s3, 1
	s_cmp_ge_u32 s5, s2
	s_cselect_b32 s2, s6, s3
	s_wait_alu 0xfffe
	s_xor_b32 s2, s2, s4
	s_wait_alu 0xfffe
	s_sub_co_i32 s2, s2, s4
	s_load_b256 s[4:11], s[0:1], 0x30
	s_mul_i32 s3, s2, s23
	s_wait_kmcnt 0x0
	s_mul_i32 s10, s22, s2
	s_wait_alu 0xfffe
	s_sub_co_i32 s3, ttmp9, s3
	s_lshl_b32 s10, s10, 7
	s_wait_alu 0xfffe
	s_lshl_b32 s11, s3, 14
	v_lshl_add_u32 v3, s3, 7, v0
	v_add3_u32 v6, s11, s10, v0
	s_abs_i32 s0, s20
	v_lshlrev_b32_e32 v0, 2, v0
	s_cvt_f32_u32 s1, s0
	v_ashrrev_i32_e32 v4, 31, v3
	v_ashrrev_i32_e32 v7, 31, v6
	s_sub_co_i32 s3, 0, s0
	s_delay_alu instid0(VALU_DEP_2) | instskip(NEXT) | instid1(VALU_DEP_2)
	v_lshlrev_b64_e32 v[4:5], 2, v[3:4]
	v_lshlrev_b64_e32 v[1:2], 2, v[6:7]
	s_delay_alu instid0(VALU_DEP_1) | instskip(NEXT) | instid1(VALU_DEP_1)
	v_add_co_u32 v1, vcc_lo, s6, v1
	v_add_co_ci_u32_e64 v2, null, s7, v2, vcc_lo
	s_delay_alu instid0(VALU_DEP_4)
	v_add_co_u32 v4, vcc_lo, s18, v4
	s_wait_alu 0xfffd
	v_add_co_ci_u32_e64 v5, null, s19, v5, vcc_lo
	s_clause 0x1f
	global_load_b32 v161, v[1:2], off
	global_load_b32 v160, v[1:2], off offset:512
	global_load_b32 v182, v[1:2], off offset:1024
	global_load_b32 v181, v[1:2], off offset:1536
	global_load_b32 v180, v[1:2], off offset:2048
	global_load_b32 v179, v[1:2], off offset:2560
	global_load_b32 v178, v[1:2], off offset:3072
	global_load_b32 v177, v[1:2], off offset:3584
	global_load_b32 v176, v[1:2], off offset:4096
	global_load_b32 v175, v[1:2], off offset:4608
	global_load_b32 v166, v[1:2], off offset:5120
	global_load_b32 v165, v[1:2], off offset:5632
	global_load_b32 v164, v[1:2], off offset:6144
	global_load_b32 v163, v[1:2], off offset:6656
	global_load_b32 v162, v[1:2], off offset:7168
	global_load_b32 v101, v[1:2], off offset:7680
	global_load_b32 v96, v[1:2], off offset:8192
	global_load_b32 v118, v[1:2], off offset:8704
	global_load_b32 v134, v[1:2], off offset:9216
	global_load_b32 v150, v[1:2], off offset:9728
	global_load_b32 v32, v[1:2], off offset:10240
	global_load_b32 v31, v[1:2], off offset:10752
	global_load_b32 v30, v[1:2], off offset:11264
	global_load_b32 v29, v[1:2], off offset:11776
	global_load_b32 v36, v[1:2], off offset:12288
	global_load_b32 v35, v[1:2], off offset:12800
	global_load_b32 v34, v[1:2], off offset:13312
	global_load_b32 v33, v[1:2], off offset:13824
	global_load_b32 v40, v[1:2], off offset:14336
	global_load_b32 v39, v[1:2], off offset:14848
	global_load_b32 v38, v[1:2], off offset:15360
	global_load_b32 v37, v[1:2], off offset:15872
	s_clause 0x1f
	global_load_b32 v44, v[1:2], off offset:16384
	global_load_b32 v43, v[1:2], off offset:16896
	global_load_b32 v42, v[1:2], off offset:17408
	global_load_b32 v41, v[1:2], off offset:17920
	global_load_b32 v48, v[1:2], off offset:18432
	global_load_b32 v47, v[1:2], off offset:18944
	global_load_b32 v46, v[1:2], off offset:19456
	global_load_b32 v45, v[1:2], off offset:19968
	global_load_b32 v56, v[1:2], off offset:20480
	global_load_b32 v55, v[1:2], off offset:20992
	global_load_b32 v54, v[1:2], off offset:21504
	global_load_b32 v53, v[1:2], off offset:22016
	global_load_b32 v61, v[1:2], off offset:22528
	global_load_b32 v60, v[1:2], off offset:23040
	global_load_b32 v59, v[1:2], off offset:23552
	global_load_b32 v58, v[1:2], off offset:24064
	global_load_b32 v73, v[1:2], off offset:24576
	global_load_b32 v72, v[1:2], off offset:25088
	global_load_b32 v71, v[1:2], off offset:25600
	global_load_b32 v70, v[1:2], off offset:26112
	global_load_b32 v77, v[1:2], off offset:26624
	global_load_b32 v76, v[1:2], off offset:27136
	global_load_b32 v75, v[1:2], off offset:27648
	global_load_b32 v74, v[1:2], off offset:28160
	global_load_b32 v89, v[1:2], off offset:28672
	global_load_b32 v88, v[1:2], off offset:29184
	global_load_b32 v87, v[1:2], off offset:29696
	global_load_b32 v86, v[1:2], off offset:30208
	global_load_b32 v93, v[1:2], off offset:30720
	global_load_b32 v92, v[1:2], off offset:31232
	global_load_b32 v91, v[1:2], off offset:31744
	global_load_b32 v90, v[1:2], off offset:32256
	s_clause 0x1f
	global_load_b32 v106, v[1:2], off offset:32768
	global_load_b32 v105, v[1:2], off offset:33280
	global_load_b32 v104, v[1:2], off offset:33792
	global_load_b32 v103, v[1:2], off offset:34304
	global_load_b32 v110, v[1:2], off offset:34816
	global_load_b32 v109, v[1:2], off offset:35328
	global_load_b32 v108, v[1:2], off offset:35840
	global_load_b32 v107, v[1:2], off offset:36352
	global_load_b32 v122, v[1:2], off offset:36864
	global_load_b32 v121, v[1:2], off offset:37376
	global_load_b32 v120, v[1:2], off offset:37888
	global_load_b32 v119, v[1:2], off offset:38400
	global_load_b32 v126, v[1:2], off offset:38912
	global_load_b32 v125, v[1:2], off offset:39424
	global_load_b32 v124, v[1:2], off offset:39936
	global_load_b32 v123, v[1:2], off offset:40448
	global_load_b32 v138, v[1:2], off offset:40960
	global_load_b32 v137, v[1:2], off offset:41472
	global_load_b32 v136, v[1:2], off offset:41984
	global_load_b32 v135, v[1:2], off offset:42496
	global_load_b32 v142, v[1:2], off offset:43008
	global_load_b32 v141, v[1:2], off offset:43520
	global_load_b32 v140, v[1:2], off offset:44032
	global_load_b32 v139, v[1:2], off offset:44544
	global_load_b32 v154, v[1:2], off offset:45056
	global_load_b32 v153, v[1:2], off offset:45568
	global_load_b32 v152, v[1:2], off offset:46080
	global_load_b32 v151, v[1:2], off offset:46592
	global_load_b32 v158, v[1:2], off offset:47104
	global_load_b32 v157, v[1:2], off offset:47616
	global_load_b32 v156, v[1:2], off offset:48128
	global_load_b32 v155, v[1:2], off offset:48640
	s_clause 0x1f
	global_load_b32 v170, v[1:2], off offset:49152
	global_load_b32 v169, v[1:2], off offset:49664
	global_load_b32 v168, v[1:2], off offset:50176
	;; [unrolled: 1-line block ×31, first 2 shown]
	s_wait_loadcnt 0x0
	s_barrier_signal -1
	s_barrier_wait -1
	global_inv scope:SCOPE_SE
	global_load_b32 v1, v[4:5], off
	v_rcp_iflag_f32_e32 v2, s1
	s_abs_i32 s6, s21
	scratch_store_b32 off, v0, off offset:280 ; 4-byte Folded Spill
	v_readfirstlane_b32 s1, v2
	s_mul_f32 s1, s1, 0x4f7ffffe
	s_wait_alu 0xfffe
	s_delay_alu instid0(SALU_CYCLE_2) | instskip(SKIP_1) | instid1(SALU_CYCLE_2)
	s_cvt_u32_f32 s1, s1
	s_wait_alu 0xfffe
	s_mul_i32 s3, s3, s1
	s_wait_alu 0xfffe
	s_mul_hi_u32 s3, s1, s3
	s_wait_alu 0xfffe
	s_add_co_i32 s1, s1, s3
	s_xor_b32 s3, s21, s20
	s_wait_alu 0xfffe
	s_mul_hi_u32 s1, s6, s1
	s_ashr_i32 s3, s3, 31
	s_wait_alu 0xfffe
	s_mul_i32 s7, s1, s0
	s_wait_alu 0xfffe
	s_sub_co_i32 s6, s6, s7
	s_add_co_i32 s7, s1, 1
	s_wait_alu 0xfffe
	s_sub_co_i32 s10, s6, s0
	s_cmp_ge_u32 s6, s0
	s_cselect_b32 s1, s7, s1
	s_wait_alu 0xfffe
	s_cselect_b32 s6, s10, s6
	s_add_co_i32 s7, s1, 1
	s_wait_alu 0xfffe
	s_cmp_ge_u32 s6, s0
	s_cselect_b32 s0, s7, s1
	s_add_co_i32 s1, s2, 1
	s_wait_alu 0xfffe
	s_xor_b32 s0, s0, s3
	s_wait_alu 0xfffe
	s_sub_co_i32 s0, s0, s3
	s_mov_b32 s3, exec_lo
	s_wait_alu 0xfffe
	s_mul_i32 s0, s0, s22
	s_wait_alu 0xfffe
	v_mad_co_u64_u32 v[4:5], null, s0, s2, v[3:4]
	s_mov_b32 s2, 0
	v_mad_co_u64_u32 v[2:3], null, s0, s1, v[3:4]
	s_wait_loadcnt 0x0
	ds_store_b32 v0, v1 offset:1536
	s_wait_storecnt_dscnt 0x0
	s_barrier_signal -1
	s_barrier_wait -1
	global_inv scope:SCOPE_SE
	v_cmpx_lt_i32_e64 v4, v2
	s_cbranch_execz .LBB1_4
; %bb.1:
	scratch_load_b32 v0, off, off offset:280 ; 4-byte Folded Reload
	v_ashrrev_i32_e32 v5, 31, v4
	s_ashr_i32 s23, s22, 31
	v_mov_b32_e32 v3, 0
	s_lshl_b64 s[0:1], s[22:23], 2
	scratch_store_b64 off, v[2:3], off offset:284 ; 8-byte Folded Spill
	s_wait_loadcnt 0x0
	v_add_nc_u32_e32 v1, 0x200, v0
	v_add_nc_u32_e32 v0, 0x400, v0
	s_clause 0x2
	scratch_store_b32 off, v1, off offset:292
	scratch_store_b64 off, v[6:7], off offset:300
	scratch_store_b32 off, v0, off offset:296
	v_lshlrev_b64_e32 v[5:6], 2, v[4:5]
.LBB1_2:                                ; =>This Inner Loop Header: Depth=1
	v_dual_mov_b32 v147, v29 :: v_dual_mov_b32 v144, v34
	s_delay_alu instid0(VALU_DEP_2) | instskip(SKIP_2) | instid1(VALU_DEP_4)
	v_add_co_u32 v29, vcc_lo, s12, v5
	v_dual_mov_b32 v159, v32 :: v_dual_mov_b32 v148, v30
	s_wait_alu 0xfffd
	v_add_co_ci_u32_e64 v30, null, s13, v6, vcc_lo
	s_clause 0x1f
	scratch_store_b64 off, v[4:5], off
	scratch_store_b32 off, v93, off offset:276
	scratch_store_b32 off, v92, off offset:272
	;; [unrolled: 1-line block ×31, first 2 shown]
	s_clause 0x1f
	scratch_store_b32 off, v151, off offset:152
	scratch_store_b32 off, v158, off offset:148
	;; [unrolled: 1-line block ×32, first 2 shown]
	s_clause 0x4
	scratch_store_b32 off, v85, off offset:24
	scratch_store_b32 off, v99, off offset:20
	;; [unrolled: 1-line block ×5, first 2 shown]
	s_wait_storecnt 0x0
	s_barrier_signal -1
	s_barrier_wait -1
	global_inv scope:SCOPE_SE
	global_load_b32 v29, v[29:30], off
	scratch_load_b32 v30, off, off offset:280 ; 4-byte Folded Reload
	v_dual_mov_b32 v149, v31 :: v_dual_mov_b32 v146, v36
	v_dual_mov_b32 v145, v35 :: v_dual_mov_b32 v132, v39
	;; [unrolled: 1-line block ×28, first 2 shown]
	s_wait_loadcnt 0x0
	ds_store_b32 v30, v29
	v_add_co_u32 v29, vcc_lo, s16, v5
	s_wait_alu 0xfffd
	v_add_co_ci_u32_e64 v30, null, s17, v6, vcc_lo
	global_load_b32 v29, v[29:30], off
	scratch_load_b32 v30, off, off offset:292 ; 4-byte Folded Reload
	s_wait_loadcnt 0x0
	ds_store_b32 v30, v29
	v_add_co_u32 v29, vcc_lo, s4, v5
	s_wait_alu 0xfffd
	v_add_co_ci_u32_e64 v30, null, s5, v6, vcc_lo
	global_load_b32 v29, v[29:30], off
	scratch_load_b32 v30, off, off offset:296 ; 4-byte Folded Reload
	s_wait_loadcnt 0x0
	ds_store_b32 v30, v29
	v_add_co_u32 v29, vcc_lo, s14, v5
	s_wait_alu 0xfffd
	v_add_co_ci_u32_e64 v30, null, s15, v6, vcc_lo
	s_wait_dscnt 0x0
	s_barrier_signal -1
	s_barrier_wait -1
	global_inv scope:SCOPE_SE
	global_load_b32 v102, v[29:30], off
	ds_load_b128 v[29:32], v3
	ds_load_b128 v[33:36], v3 offset:16
	ds_load_b128 v[37:40], v3 offset:32
	;; [unrolled: 1-line block ×3, first 2 shown]
	s_wait_loadcnt_dscnt 0x3
	v_mul_f32_e32 v160, v102, v30
	v_mul_f32_e32 v161, v102, v29
	;; [unrolled: 1-line block ×3, first 2 shown]
	s_wait_dscnt 0x1
	v_mul_f32_e32 v175, v102, v38
	v_mul_f32_e32 v176, v102, v37
	v_mul_f32_e32 v179, v102, v34
	v_mul_f32_e32 v180, v102, v33
	v_mul_f32_e32 v181, v102, v32
	ds_load_b128 v[29:32], v3 offset:512
	ds_load_b128 v[45:48], v3 offset:1536
	s_wait_dscnt 0x2
	v_mul_f32_e32 v163, v102, v42
	v_mul_f32_e32 v164, v102, v41
	;; [unrolled: 1-line block ×8, first 2 shown]
	s_wait_dscnt 0x0
	v_fma_f32 v45, v161, v45, v12
	s_delay_alu instid0(VALU_DEP_1) | instskip(SKIP_1) | instid1(VALU_DEP_1)
	v_fma_f32 v57, v29, v45, 0
	v_fma_f32 v29, v160, v46, v11
	v_fmac_f32_e32 v57, v30, v29
	v_fma_f32 v29, v182, v47, v10
	s_delay_alu instid0(VALU_DEP_1) | instskip(SKIP_1) | instid1(VALU_DEP_1)
	v_fmac_f32_e32 v57, v31, v29
	v_fma_f32 v29, v181, v48, v9
	v_fmac_f32_e32 v57, v32, v29
	ds_load_b128 v[29:32], v3 offset:1024
	s_wait_dscnt 0x0
	v_dual_fmac_f32 v160, v11, v30 :: v_dual_fmac_f32 v161, v12, v29
	v_dual_fmac_f32 v182, v10, v31 :: v_dual_fmac_f32 v181, v9, v32
	ds_load_b128 v[9:12], v3 offset:528
	ds_load_b128 v[29:32], v3 offset:1552
	s_wait_dscnt 0x0
	v_fma_f32 v29, v180, v29, v16
	s_delay_alu instid0(VALU_DEP_1) | instskip(SKIP_1) | instid1(VALU_DEP_1)
	v_fmac_f32_e32 v57, v9, v29
	v_fma_f32 v9, v179, v30, v15
	v_fmac_f32_e32 v57, v10, v9
	v_fma_f32 v9, v178, v31, v14
	s_delay_alu instid0(VALU_DEP_1) | instskip(SKIP_1) | instid1(VALU_DEP_1)
	v_fmac_f32_e32 v57, v11, v9
	v_fma_f32 v9, v177, v32, v13
	v_fmac_f32_e32 v57, v12, v9
	ds_load_b128 v[9:12], v3 offset:1040
	s_wait_dscnt 0x0
	v_dual_fmac_f32 v179, v15, v10 :: v_dual_fmac_f32 v180, v16, v9
	v_dual_fmac_f32 v178, v14, v11 :: v_dual_fmac_f32 v177, v13, v12
	ds_load_b128 v[9:12], v3 offset:544
	ds_load_b128 v[13:16], v3 offset:1568
	s_wait_dscnt 0x0
	v_fma_f32 v13, v176, v13, v20
	s_delay_alu instid0(VALU_DEP_1) | instskip(SKIP_1) | instid1(VALU_DEP_1)
	v_fmac_f32_e32 v57, v9, v13
	v_fma_f32 v9, v175, v14, v19
	v_fmac_f32_e32 v57, v10, v9
	v_fma_f32 v9, v166, v15, v18
	s_delay_alu instid0(VALU_DEP_1) | instskip(SKIP_1) | instid1(VALU_DEP_1)
	v_fmac_f32_e32 v57, v11, v9
	v_fma_f32 v9, v165, v16, v17
	v_fmac_f32_e32 v57, v12, v9
	ds_load_b128 v[9:12], v3 offset:1056
	s_wait_dscnt 0x0
	v_dual_fmac_f32 v175, v19, v10 :: v_dual_fmac_f32 v176, v20, v9
	v_dual_fmac_f32 v166, v18, v11 :: v_dual_fmac_f32 v165, v17, v12
	ds_load_b128 v[9:12], v3 offset:560
	ds_load_b128 v[13:16], v3 offset:1584
	s_wait_dscnt 0x0
	v_fma_f32 v13, v164, v13, v24
	s_delay_alu instid0(VALU_DEP_1) | instskip(SKIP_1) | instid1(VALU_DEP_1)
	v_fmac_f32_e32 v57, v9, v13
	v_fma_f32 v9, v163, v14, v23
	v_fmac_f32_e32 v57, v10, v9
	v_fma_f32 v9, v162, v15, v22
	s_delay_alu instid0(VALU_DEP_1) | instskip(SKIP_1) | instid1(VALU_DEP_1)
	v_fmac_f32_e32 v57, v11, v9
	v_fma_f32 v9, v101, v16, v21
	v_fmac_f32_e32 v57, v12, v9
	ds_load_b128 v[9:12], v3 offset:1072
	s_wait_dscnt 0x0
	v_dual_fmac_f32 v163, v23, v10 :: v_dual_fmac_f32 v164, v24, v9
	v_dual_fmac_f32 v162, v22, v11 :: v_dual_fmac_f32 v101, v21, v12
	ds_load_b128 v[9:12], v3 offset:64
	s_wait_dscnt 0x0
	v_mul_f32_e32 v96, v102, v9
	v_mul_f32_e32 v118, v102, v10
	;; [unrolled: 1-line block ×4, first 2 shown]
	ds_load_b128 v[9:12], v3 offset:576
	ds_load_b128 v[13:16], v3 offset:1600
	s_wait_dscnt 0x0
	v_fma_f32 v13, v96, v13, v28
	s_delay_alu instid0(VALU_DEP_1) | instskip(SKIP_1) | instid1(VALU_DEP_1)
	v_fmac_f32_e32 v57, v9, v13
	v_fma_f32 v9, v118, v14, v27
	v_fmac_f32_e32 v57, v10, v9
	v_fma_f32 v9, v134, v15, v26
	s_delay_alu instid0(VALU_DEP_1) | instskip(SKIP_1) | instid1(VALU_DEP_1)
	v_fmac_f32_e32 v57, v11, v9
	v_fma_f32 v9, v150, v16, v25
	v_fmac_f32_e32 v57, v12, v9
	ds_load_b128 v[9:12], v3 offset:1088
	s_wait_dscnt 0x0
	v_fmac_f32_e32 v96, v28, v9
	v_fmac_f32_e32 v118, v27, v10
	;; [unrolled: 1-line block ×4, first 2 shown]
	ds_load_b128 v[9:12], v3 offset:80
	s_wait_dscnt 0x0
	v_mul_f32_e32 v32, v102, v9
	v_mul_f32_e32 v31, v102, v10
	v_mul_f32_e32 v30, v102, v11
	v_mul_f32_e32 v29, v102, v12
	ds_load_b128 v[9:12], v3 offset:592
	ds_load_b128 v[13:16], v3 offset:1616
	s_wait_dscnt 0x0
	v_fma_f32 v13, v32, v13, v159
	s_delay_alu instid0(VALU_DEP_1) | instskip(SKIP_1) | instid1(VALU_DEP_1)
	v_fmac_f32_e32 v57, v9, v13
	v_fma_f32 v9, v31, v14, v149
	v_fmac_f32_e32 v57, v10, v9
	v_fma_f32 v9, v30, v15, v148
	s_delay_alu instid0(VALU_DEP_1) | instskip(SKIP_1) | instid1(VALU_DEP_1)
	v_fmac_f32_e32 v57, v11, v9
	v_fma_f32 v9, v29, v16, v147
	v_fmac_f32_e32 v57, v12, v9
	ds_load_b128 v[9:12], v3 offset:1104
	s_wait_dscnt 0x0
	v_dual_fmac_f32 v32, v159, v9 :: v_dual_fmac_f32 v31, v149, v10
	v_dual_fmac_f32 v30, v148, v11 :: v_dual_fmac_f32 v29, v147, v12
	ds_load_b128 v[9:12], v3 offset:96
	s_wait_dscnt 0x0
	v_mul_f32_e32 v36, v102, v9
	v_mul_f32_e32 v35, v102, v10
	v_mul_f32_e32 v34, v102, v11
	v_mul_f32_e32 v33, v102, v12
	ds_load_b128 v[9:12], v3 offset:608
	ds_load_b128 v[13:16], v3 offset:1632
	s_wait_dscnt 0x0
	v_fma_f32 v13, v36, v13, v146
	s_delay_alu instid0(VALU_DEP_1) | instskip(SKIP_1) | instid1(VALU_DEP_1)
	v_fmac_f32_e32 v57, v9, v13
	v_fma_f32 v9, v35, v14, v145
	v_fmac_f32_e32 v57, v10, v9
	v_fma_f32 v9, v34, v15, v144
	s_delay_alu instid0(VALU_DEP_1) | instskip(SKIP_1) | instid1(VALU_DEP_1)
	v_fmac_f32_e32 v57, v11, v9
	v_fma_f32 v9, v33, v16, v143
	v_fmac_f32_e32 v57, v12, v9
	ds_load_b128 v[9:12], v3 offset:1120
	s_wait_dscnt 0x0
	v_dual_fmac_f32 v36, v146, v9 :: v_dual_fmac_f32 v35, v145, v10
	v_dual_fmac_f32 v34, v144, v11 :: v_dual_fmac_f32 v33, v143, v12
	;; [unrolled: 23-line block ×8, first 2 shown]
	ds_load_b128 v[9:12], v3 offset:208
	s_wait_dscnt 0x0
	v_mul_f32_e32 v77, v102, v9
	v_mul_f32_e32 v76, v102, v10
	;; [unrolled: 1-line block ×4, first 2 shown]
	ds_load_b128 v[9:12], v3 offset:720
	ds_load_b128 v[13:16], v3 offset:1744
	s_wait_dscnt 0x0
	v_fma_f32 v13, v77, v13, v49
	s_delay_alu instid0(VALU_DEP_1) | instskip(SKIP_1) | instid1(VALU_DEP_1)
	v_fmac_f32_e32 v57, v9, v13
	v_fma_f32 v9, v76, v14, v2
	v_fmac_f32_e32 v57, v10, v9
	v_fma_f32 v9, v75, v15, v0
	s_delay_alu instid0(VALU_DEP_1) | instskip(SKIP_1) | instid1(VALU_DEP_1)
	v_fmac_f32_e32 v57, v11, v9
	v_fma_f32 v9, v74, v16, v4
	v_fmac_f32_e32 v57, v12, v9
	ds_load_b128 v[9:12], v3 offset:1232
	s_wait_dscnt 0x0
	v_dual_fmac_f32 v77, v49, v9 :: v_dual_fmac_f32 v76, v2, v10
	v_fmac_f32_e32 v75, v0, v11
	v_fmac_f32_e32 v74, v4, v12
	ds_load_b128 v[9:12], v3 offset:224
	s_wait_dscnt 0x0
	v_mul_f32_e32 v89, v102, v9
	v_mul_f32_e32 v88, v102, v10
	;; [unrolled: 1-line block ×4, first 2 shown]
	ds_load_b128 v[9:12], v3 offset:736
	ds_load_b128 v[13:16], v3 offset:1760
	s_wait_dscnt 0x0
	v_fma_f32 v0, v89, v13, v8
	s_delay_alu instid0(VALU_DEP_1) | instskip(SKIP_1) | instid1(VALU_DEP_1)
	v_fmac_f32_e32 v57, v9, v0
	v_fma_f32 v0, v88, v14, v7
	v_fmac_f32_e32 v57, v10, v0
	v_fma_f32 v0, v87, v15, v1
	s_delay_alu instid0(VALU_DEP_1) | instskip(SKIP_1) | instid1(VALU_DEP_1)
	v_fmac_f32_e32 v57, v11, v0
	v_fma_f32 v0, v86, v16, v191
	v_fmac_f32_e32 v57, v12, v0
	ds_load_b128 v[9:12], v3 offset:1248
	s_wait_dscnt 0x0
	v_dual_fmac_f32 v89, v8, v9 :: v_dual_fmac_f32 v88, v7, v10
	ds_load_b128 v[7:10], v3 offset:240
	v_dual_fmac_f32 v87, v1, v11 :: v_dual_fmac_f32 v86, v191, v12
	s_wait_dscnt 0x0
	v_mul_f32_e32 v93, v102, v7
	v_mul_f32_e32 v92, v102, v8
	v_mul_f32_e32 v91, v102, v9
	v_mul_f32_e32 v90, v102, v10
	ds_load_b128 v[7:10], v3 offset:752
	ds_load_b128 v[11:14], v3 offset:1776
	s_clause 0x3
	scratch_load_b32 v15, off, off offset:276 th:TH_LOAD_LU
	scratch_load_b32 v4, off, off offset:272 th:TH_LOAD_LU
	scratch_load_b32 v2, off, off offset:268 th:TH_LOAD_LU
	scratch_load_b32 v1, off, off offset:264 th:TH_LOAD_LU
	s_wait_loadcnt_dscnt 0x300
	v_fma_f32 v0, v93, v11, v15
	s_delay_alu instid0(VALU_DEP_1) | instskip(SKIP_2) | instid1(VALU_DEP_1)
	v_fmac_f32_e32 v57, v7, v0
	s_wait_loadcnt 0x2
	v_fma_f32 v0, v92, v12, v4
	v_fmac_f32_e32 v57, v8, v0
	s_wait_loadcnt 0x1
	v_fma_f32 v0, v91, v13, v2
	s_delay_alu instid0(VALU_DEP_1) | instskip(SKIP_2) | instid1(VALU_DEP_1)
	v_fmac_f32_e32 v57, v9, v0
	s_wait_loadcnt 0x0
	v_fma_f32 v0, v90, v14, v1
	v_fmac_f32_e32 v57, v10, v0
	ds_load_b128 v[7:10], v3 offset:1264
	s_wait_dscnt 0x0
	v_dual_fmac_f32 v93, v15, v7 :: v_dual_fmac_f32 v92, v4, v8
	v_dual_fmac_f32 v91, v2, v9 :: v_dual_fmac_f32 v90, v1, v10
	ds_load_b128 v[7:10], v3 offset:256
	s_wait_dscnt 0x0
	v_mul_f32_e32 v106, v102, v7
	v_mul_f32_e32 v105, v102, v8
	v_mul_f32_e32 v104, v102, v9
	v_mul_f32_e32 v103, v102, v10
	ds_load_b128 v[7:10], v3 offset:768
	ds_load_b128 v[11:14], v3 offset:1792
	s_clause 0x3
	scratch_load_b32 v15, off, off offset:260 th:TH_LOAD_LU
	scratch_load_b32 v4, off, off offset:256 th:TH_LOAD_LU
	scratch_load_b32 v2, off, off offset:252 th:TH_LOAD_LU
	scratch_load_b32 v1, off, off offset:248 th:TH_LOAD_LU
	s_wait_loadcnt_dscnt 0x300
	v_fma_f32 v0, v106, v11, v15
	s_delay_alu instid0(VALU_DEP_1) | instskip(SKIP_2) | instid1(VALU_DEP_1)
	v_fmac_f32_e32 v57, v7, v0
	s_wait_loadcnt 0x2
	v_fma_f32 v0, v105, v12, v4
	v_fmac_f32_e32 v57, v8, v0
	s_wait_loadcnt 0x1
	v_fma_f32 v0, v104, v13, v2
	s_delay_alu instid0(VALU_DEP_1) | instskip(SKIP_2) | instid1(VALU_DEP_1)
	v_fmac_f32_e32 v57, v9, v0
	s_wait_loadcnt 0x0
	v_fma_f32 v0, v103, v14, v1
	v_fmac_f32_e32 v57, v10, v0
	ds_load_b128 v[7:10], v3 offset:1280
	s_wait_dscnt 0x0
	v_dual_fmac_f32 v106, v15, v7 :: v_dual_fmac_f32 v105, v4, v8
	v_dual_fmac_f32 v104, v2, v9 :: v_dual_fmac_f32 v103, v1, v10
	ds_load_b128 v[7:10], v3 offset:272
	;; [unrolled: 31-line block ×15, first 2 shown]
	s_wait_dscnt 0x0
	v_mul_f32_e32 v63, v102, v7
	v_mul_f32_e32 v52, v102, v8
	;; [unrolled: 1-line block ×4, first 2 shown]
	ds_load_b128 v[7:10], v3 offset:992
	ds_load_b128 v[11:14], v3 offset:2016
	s_clause 0x3
	scratch_load_b32 v15, off, off offset:36 th:TH_LOAD_LU
	scratch_load_b32 v4, off, off offset:32 th:TH_LOAD_LU
	;; [unrolled: 1-line block ×4, first 2 shown]
	s_wait_loadcnt_dscnt 0x300
	v_fma_f32 v0, v63, v11, v15
	s_delay_alu instid0(VALU_DEP_1) | instskip(SKIP_2) | instid1(VALU_DEP_1)
	v_fmac_f32_e32 v57, v7, v0
	s_wait_loadcnt 0x2
	v_fma_f32 v0, v52, v12, v4
	v_fmac_f32_e32 v57, v8, v0
	s_wait_loadcnt 0x1
	v_fma_f32 v0, v65, v13, v2
	s_delay_alu instid0(VALU_DEP_1) | instskip(SKIP_2) | instid1(VALU_DEP_1)
	v_fmac_f32_e32 v57, v9, v0
	s_wait_loadcnt 0x0
	v_fma_f32 v0, v85, v14, v1
	v_fmac_f32_e32 v57, v10, v0
	ds_load_b128 v[7:10], v3 offset:1504
	s_wait_dscnt 0x0
	v_dual_fmac_f32 v63, v15, v7 :: v_dual_fmac_f32 v52, v4, v8
	v_fmac_f32_e32 v65, v2, v9
	v_fmac_f32_e32 v85, v1, v10
	ds_load_b128 v[7:10], v3 offset:496
	s_wait_dscnt 0x0
	v_mul_f32_e32 v99, v102, v7
	v_mul_f32_e32 v98, v102, v8
	v_mul_f32_e32 v97, v102, v9
	v_mul_f32_e32 v102, v102, v10
	ds_load_b128 v[7:10], v3 offset:1008
	ds_load_b128 v[11:14], v3 offset:2032
	s_clause 0x2
	scratch_load_b32 v4, off, off offset:20 th:TH_LOAD_LU
	scratch_load_b32 v2, off, off offset:16 th:TH_LOAD_LU
	;; [unrolled: 1-line block ×3, first 2 shown]
	s_wait_loadcnt_dscnt 0x200
	v_fma_f32 v0, v99, v11, v4
	scratch_load_b32 v11, off, off offset:8 th:TH_LOAD_LU ; 4-byte Folded Reload
	v_fmac_f32_e32 v57, v7, v0
	s_wait_loadcnt 0x2
	v_fma_f32 v0, v98, v12, v2
	s_delay_alu instid0(VALU_DEP_1) | instskip(SKIP_2) | instid1(VALU_DEP_1)
	v_fmac_f32_e32 v57, v8, v0
	s_wait_loadcnt 0x1
	v_fma_f32 v0, v97, v13, v1
	v_fmac_f32_e32 v57, v9, v0
	s_wait_loadcnt 0x0
	v_fma_f32 v0, v102, v14, v11
	s_delay_alu instid0(VALU_DEP_1)
	v_fmac_f32_e32 v57, v10, v0
	ds_load_b128 v[7:10], v3 offset:1520
	s_wait_dscnt 0x0
	v_fmac_f32_e32 v97, v1, v9
	scratch_load_b64 v[0:1], off, off offset:284 ; 8-byte Folded Reload
	v_dual_fmac_f32 v98, v2, v8 :: v_dual_fmac_f32 v99, v4, v7
	v_fmac_f32_e32 v102, v11, v10
	s_wait_loadcnt 0x0
	v_mov_b32_e32 v2, v0
	scratch_load_b64 v[0:1], off, off th:TH_LOAD_LU ; 8-byte Folded Reload
	s_wait_loadcnt 0x0
	v_mov_b32_e32 v4, v0
	v_add_co_u32 v0, vcc_lo, s8, v5
	s_wait_alu 0xfffd
	v_add_co_ci_u32_e64 v1, null, s9, v6, vcc_lo
	s_delay_alu instid0(VALU_DEP_3)
	v_add_nc_u32_e32 v4, s22, v4
	s_wait_alu 0xfffe
	v_add_co_u32 v5, vcc_lo, v5, s0
	s_wait_alu 0xfffd
	v_add_co_ci_u32_e64 v6, null, s1, v6, vcc_lo
	v_cmp_ge_i32_e32 vcc_lo, v4, v2
	global_store_b32 v[0:1], v57, off
	s_or_b32 s2, vcc_lo, s2
	s_wait_alu 0xfffe
	s_and_not1_b32 exec_lo, exec_lo, s2
	s_cbranch_execnz .LBB1_2
; %bb.3:
	s_or_b32 exec_lo, exec_lo, s2
	scratch_load_b64 v[6:7], off, off offset:300 ; 8-byte Folded Reload
                                        ; kill: def $vgpr6 killed $vgpr6 def $vgpr7
.LBB1_4:
	s_or_b32 exec_lo, exec_lo, s3
	s_wait_loadcnt 0x0
	v_mad_co_u64_u32 v[0:1], null, s22, s21, v[6:7]
	s_delay_alu instid0(VALU_DEP_1) | instskip(NEXT) | instid1(VALU_DEP_1)
	v_ashrrev_i32_e32 v1, 31, v0
	v_lshlrev_b64_e32 v[0:1], 2, v[0:1]
	s_delay_alu instid0(VALU_DEP_1) | instskip(SKIP_1) | instid1(VALU_DEP_2)
	v_add_co_u32 v0, vcc_lo, s8, v0
	s_wait_alu 0xfffd
	v_add_co_ci_u32_e64 v1, null, s9, v1, vcc_lo
	s_clause 0x1f
	global_store_b32 v[0:1], v161, off
	global_store_b32 v[0:1], v160, off offset:512
	global_store_b32 v[0:1], v182, off offset:1024
	global_store_b32 v[0:1], v181, off offset:1536
	global_store_b32 v[0:1], v180, off offset:2048
	global_store_b32 v[0:1], v179, off offset:2560
	global_store_b32 v[0:1], v178, off offset:3072
	global_store_b32 v[0:1], v177, off offset:3584
	global_store_b32 v[0:1], v176, off offset:4096
	global_store_b32 v[0:1], v175, off offset:4608
	global_store_b32 v[0:1], v166, off offset:5120
	global_store_b32 v[0:1], v165, off offset:5632
	global_store_b32 v[0:1], v164, off offset:6144
	global_store_b32 v[0:1], v163, off offset:6656
	global_store_b32 v[0:1], v162, off offset:7168
	global_store_b32 v[0:1], v101, off offset:7680
	global_store_b32 v[0:1], v96, off offset:8192
	global_store_b32 v[0:1], v118, off offset:8704
	global_store_b32 v[0:1], v134, off offset:9216
	global_store_b32 v[0:1], v150, off offset:9728
	global_store_b32 v[0:1], v32, off offset:10240
	global_store_b32 v[0:1], v31, off offset:10752
	global_store_b32 v[0:1], v30, off offset:11264
	global_store_b32 v[0:1], v29, off offset:11776
	global_store_b32 v[0:1], v36, off offset:12288
	global_store_b32 v[0:1], v35, off offset:12800
	global_store_b32 v[0:1], v34, off offset:13312
	global_store_b32 v[0:1], v33, off offset:13824
	global_store_b32 v[0:1], v40, off offset:14336
	global_store_b32 v[0:1], v39, off offset:14848
	global_store_b32 v[0:1], v38, off offset:15360
	global_store_b32 v[0:1], v37, off offset:15872
	s_clause 0x1f
	global_store_b32 v[0:1], v44, off offset:16384
	global_store_b32 v[0:1], v43, off offset:16896
	global_store_b32 v[0:1], v42, off offset:17408
	global_store_b32 v[0:1], v41, off offset:17920
	global_store_b32 v[0:1], v48, off offset:18432
	global_store_b32 v[0:1], v47, off offset:18944
	global_store_b32 v[0:1], v46, off offset:19456
	global_store_b32 v[0:1], v45, off offset:19968
	global_store_b32 v[0:1], v56, off offset:20480
	global_store_b32 v[0:1], v55, off offset:20992
	global_store_b32 v[0:1], v54, off offset:21504
	global_store_b32 v[0:1], v53, off offset:22016
	global_store_b32 v[0:1], v61, off offset:22528
	global_store_b32 v[0:1], v60, off offset:23040
	global_store_b32 v[0:1], v59, off offset:23552
	global_store_b32 v[0:1], v58, off offset:24064
	global_store_b32 v[0:1], v73, off offset:24576
	global_store_b32 v[0:1], v72, off offset:25088
	global_store_b32 v[0:1], v71, off offset:25600
	global_store_b32 v[0:1], v70, off offset:26112
	global_store_b32 v[0:1], v77, off offset:26624
	global_store_b32 v[0:1], v76, off offset:27136
	global_store_b32 v[0:1], v75, off offset:27648
	global_store_b32 v[0:1], v74, off offset:28160
	global_store_b32 v[0:1], v89, off offset:28672
	global_store_b32 v[0:1], v88, off offset:29184
	global_store_b32 v[0:1], v87, off offset:29696
	global_store_b32 v[0:1], v86, off offset:30208
	global_store_b32 v[0:1], v93, off offset:30720
	global_store_b32 v[0:1], v92, off offset:31232
	global_store_b32 v[0:1], v91, off offset:31744
	global_store_b32 v[0:1], v90, off offset:32256
	s_clause 0x1f
	global_store_b32 v[0:1], v106, off offset:32768
	;; [unrolled: 33-line block ×3, first 2 shown]
	global_store_b32 v[0:1], v169, off offset:49664
	global_store_b32 v[0:1], v168, off offset:50176
	;; [unrolled: 1-line block ×31, first 2 shown]
	s_nop 0
	s_sendmsg sendmsg(MSG_DEALLOC_VGPRS)
	s_endpgm
	.section	.rodata,"a",@progbits
	.p2align	6, 0x0
	.amdhsa_kernel _ZL12rwkv_wkv_f32ILi128EEviiiiPKfS1_S1_S1_S1_S1_Pf
		.amdhsa_group_segment_fixed_size 2048
		.amdhsa_private_segment_fixed_size 312
		.amdhsa_kernarg_size 72
		.amdhsa_user_sgpr_count 2
		.amdhsa_user_sgpr_dispatch_ptr 0
		.amdhsa_user_sgpr_queue_ptr 0
		.amdhsa_user_sgpr_kernarg_segment_ptr 1
		.amdhsa_user_sgpr_dispatch_id 0
		.amdhsa_user_sgpr_private_segment_size 0
		.amdhsa_wavefront_size32 1
		.amdhsa_uses_dynamic_stack 0
		.amdhsa_enable_private_segment 1
		.amdhsa_system_sgpr_workgroup_id_x 1
		.amdhsa_system_sgpr_workgroup_id_y 0
		.amdhsa_system_sgpr_workgroup_id_z 0
		.amdhsa_system_sgpr_workgroup_info 0
		.amdhsa_system_vgpr_workitem_id 0
		.amdhsa_next_free_vgpr 192
		.amdhsa_next_free_sgpr 24
		.amdhsa_reserve_vcc 1
		.amdhsa_float_round_mode_32 0
		.amdhsa_float_round_mode_16_64 0
		.amdhsa_float_denorm_mode_32 3
		.amdhsa_float_denorm_mode_16_64 3
		.amdhsa_fp16_overflow 0
		.amdhsa_workgroup_processor_mode 1
		.amdhsa_memory_ordered 1
		.amdhsa_forward_progress 1
		.amdhsa_inst_pref_size 84
		.amdhsa_round_robin_scheduling 0
		.amdhsa_exception_fp_ieee_invalid_op 0
		.amdhsa_exception_fp_denorm_src 0
		.amdhsa_exception_fp_ieee_div_zero 0
		.amdhsa_exception_fp_ieee_overflow 0
		.amdhsa_exception_fp_ieee_underflow 0
		.amdhsa_exception_fp_ieee_inexact 0
		.amdhsa_exception_int_div_zero 0
	.end_amdhsa_kernel
	.section	.text._ZL12rwkv_wkv_f32ILi128EEviiiiPKfS1_S1_S1_S1_S1_Pf,"axG",@progbits,_ZL12rwkv_wkv_f32ILi128EEviiiiPKfS1_S1_S1_S1_S1_Pf,comdat
.Lfunc_end1:
	.size	_ZL12rwkv_wkv_f32ILi128EEviiiiPKfS1_S1_S1_S1_S1_Pf, .Lfunc_end1-_ZL12rwkv_wkv_f32ILi128EEviiiiPKfS1_S1_S1_S1_S1_Pf
                                        ; -- End function
	.set _ZL12rwkv_wkv_f32ILi128EEviiiiPKfS1_S1_S1_S1_S1_Pf.num_vgpr, 192
	.set _ZL12rwkv_wkv_f32ILi128EEviiiiPKfS1_S1_S1_S1_S1_Pf.num_agpr, 0
	.set _ZL12rwkv_wkv_f32ILi128EEviiiiPKfS1_S1_S1_S1_S1_Pf.numbered_sgpr, 24
	.set _ZL12rwkv_wkv_f32ILi128EEviiiiPKfS1_S1_S1_S1_S1_Pf.num_named_barrier, 0
	.set _ZL12rwkv_wkv_f32ILi128EEviiiiPKfS1_S1_S1_S1_S1_Pf.private_seg_size, 312
	.set _ZL12rwkv_wkv_f32ILi128EEviiiiPKfS1_S1_S1_S1_S1_Pf.uses_vcc, 1
	.set _ZL12rwkv_wkv_f32ILi128EEviiiiPKfS1_S1_S1_S1_S1_Pf.uses_flat_scratch, 1
	.set _ZL12rwkv_wkv_f32ILi128EEviiiiPKfS1_S1_S1_S1_S1_Pf.has_dyn_sized_stack, 0
	.set _ZL12rwkv_wkv_f32ILi128EEviiiiPKfS1_S1_S1_S1_S1_Pf.has_recursion, 0
	.set _ZL12rwkv_wkv_f32ILi128EEviiiiPKfS1_S1_S1_S1_S1_Pf.has_indirect_call, 0
	.section	.AMDGPU.csdata,"",@progbits
; Kernel info:
; codeLenInByte = 10652
; TotalNumSgprs: 26
; NumVgprs: 192
; ScratchSize: 312
; MemoryBound: 0
; FloatMode: 240
; IeeeMode: 1
; LDSByteSize: 2048 bytes/workgroup (compile time only)
; SGPRBlocks: 0
; VGPRBlocks: 23
; NumSGPRsForWavesPerEU: 26
; NumVGPRsForWavesPerEU: 192
; Occupancy: 8
; WaveLimiterHint : 1
; COMPUTE_PGM_RSRC2:SCRATCH_EN: 1
; COMPUTE_PGM_RSRC2:USER_SGPR: 2
; COMPUTE_PGM_RSRC2:TRAP_HANDLER: 0
; COMPUTE_PGM_RSRC2:TGID_X_EN: 1
; COMPUTE_PGM_RSRC2:TGID_Y_EN: 0
; COMPUTE_PGM_RSRC2:TGID_Z_EN: 0
; COMPUTE_PGM_RSRC2:TIDIG_COMP_CNT: 0
	.section	.text._ZL13rwkv_wkv7_f32ILi64EEviiiiPKfS1_S1_S1_S1_S1_S1_Pf,"axG",@progbits,_ZL13rwkv_wkv7_f32ILi64EEviiiiPKfS1_S1_S1_S1_S1_S1_Pf,comdat
	.globl	_ZL13rwkv_wkv7_f32ILi64EEviiiiPKfS1_S1_S1_S1_S1_S1_Pf ; -- Begin function _ZL13rwkv_wkv7_f32ILi64EEviiiiPKfS1_S1_S1_S1_S1_S1_Pf
	.p2align	8
	.type	_ZL13rwkv_wkv7_f32ILi64EEviiiiPKfS1_S1_S1_S1_S1_S1_Pf,@function
_ZL13rwkv_wkv7_f32ILi64EEviiiiPKfS1_S1_S1_S1_S1_S1_Pf: ; @_ZL13rwkv_wkv7_f32ILi64EEviiiiPKfS1_S1_S1_S1_S1_S1_Pf
; %bb.0:
	s_load_b128 s[20:23], s[0:1], 0x0
	s_abs_i32 s5, ttmp9
	s_wait_kmcnt 0x0
	s_abs_i32 s2, s23
	s_delay_alu instid0(SALU_CYCLE_1) | instskip(SKIP_1) | instid1(SALU_CYCLE_2)
	s_cvt_f32_u32 s3, s2
	s_sub_co_i32 s4, 0, s2
	v_rcp_iflag_f32_e32 v1, s3
	s_delay_alu instid0(TRANS32_DEP_1) | instskip(SKIP_3) | instid1(SALU_CYCLE_2)
	v_readfirstlane_b32 s3, v1
	v_lshlrev_b32_e32 v1, 6, v0
	s_mul_f32 s3, s3, 0x4f7ffffe
	s_wait_alu 0xfffe
	s_cvt_u32_f32 s3, s3
	s_wait_alu 0xfffe
	s_delay_alu instid0(SALU_CYCLE_2) | instskip(NEXT) | instid1(SALU_CYCLE_1)
	s_mul_i32 s4, s4, s3
	s_mul_hi_u32 s4, s3, s4
	s_delay_alu instid0(SALU_CYCLE_1)
	s_add_co_i32 s3, s3, s4
	s_xor_b32 s4, ttmp9, s23
	s_wait_alu 0xfffe
	s_mul_hi_u32 s3, s5, s3
	s_ashr_i32 s24, s4, 31
	s_wait_alu 0xfffe
	s_mul_i32 s6, s3, s2
	s_delay_alu instid0(SALU_CYCLE_1)
	s_sub_co_i32 s4, s5, s6
	s_add_co_i32 s5, s3, 1
	s_sub_co_i32 s6, s4, s2
	s_cmp_ge_u32 s4, s2
	s_cselect_b32 s3, s5, s3
	s_cselect_b32 s4, s6, s4
	s_wait_alu 0xfffe
	s_add_co_i32 s5, s3, 1
	s_cmp_ge_u32 s4, s2
	s_cselect_b32 s2, s5, s3
	s_load_b512 s[4:19], s[0:1], 0x10
	s_xor_b32 s2, s2, s24
	s_wait_alu 0xfffe
	s_sub_co_i32 s0, s2, s24
	s_delay_alu instid0(SALU_CYCLE_1)
	s_mul_i32 s1, s0, s23
	s_mul_i32 s2, s22, s0
	s_sub_co_i32 s1, ttmp9, s1
	s_wait_alu 0xfffe
	s_lshl_b32 s2, s2, 6
	s_lshl_b32 s3, s1, 12
	v_lshl_add_u32 v68, s1, 6, v0
	s_wait_alu 0xfffe
	v_add3_u32 v65, s3, s2, v1
	s_abs_i32 s2, s20
	s_wait_alu 0xfffe
	s_cvt_f32_u32 s3, s2
	s_delay_alu instid0(VALU_DEP_1) | instskip(NEXT) | instid1(VALU_DEP_1)
	v_ashrrev_i32_e32 v66, 31, v65
	v_lshlrev_b64_e32 v[1:2], 2, v[65:66]
	s_wait_alu 0xfffe
	v_rcp_iflag_f32_e32 v66, s3
	s_wait_kmcnt 0x0
	s_delay_alu instid0(VALU_DEP_1) | instskip(NEXT) | instid1(VALU_DEP_1)
	v_add_co_u32 v1, vcc_lo, s16, v1
	v_add_co_ci_u32_e64 v2, null, s17, v2, vcc_lo
	s_sub_co_i32 s16, 0, s2
	s_delay_alu instid0(TRANS32_DEP_1)
	v_readfirstlane_b32 s3, v66
	s_abs_i32 s17, s21
	s_clause 0xf
	global_load_b128 v[61:64], v[1:2], off
	global_load_b128 v[57:60], v[1:2], off offset:16
	global_load_b128 v[53:56], v[1:2], off offset:32
	;; [unrolled: 1-line block ×15, first 2 shown]
	s_mul_f32 s3, s3, 0x4f7ffffe
	s_wait_alu 0xfffe
	s_delay_alu instid0(SALU_CYCLE_2) | instskip(SKIP_1) | instid1(SALU_CYCLE_2)
	s_cvt_u32_f32 s3, s3
	s_wait_alu 0xfffe
	s_mul_i32 s16, s16, s3
	s_wait_alu 0xfffe
	s_mul_hi_u32 s16, s3, s16
	s_wait_alu 0xfffe
	s_add_co_i32 s3, s3, s16
	s_xor_b32 s16, s21, s20
	s_wait_alu 0xfffe
	s_mul_hi_u32 s3, s17, s3
	s_ashr_i32 s16, s16, 31
	s_wait_alu 0xfffe
	s_mul_i32 s20, s3, s2
	s_delay_alu instid0(SALU_CYCLE_1)
	s_sub_co_i32 s17, s17, s20
	s_add_co_i32 s20, s3, 1
	s_wait_alu 0xfffe
	s_sub_co_i32 s23, s17, s2
	s_cmp_ge_u32 s17, s2
	s_cselect_b32 s3, s20, s3
	s_cselect_b32 s17, s23, s17
	s_wait_alu 0xfffe
	s_add_co_i32 s20, s3, 1
	s_cmp_ge_u32 s17, s2
	s_cselect_b32 s2, s20, s3
	s_wait_alu 0xfffe
	s_xor_b32 s2, s2, s16
	s_wait_alu 0xfffe
	s_sub_co_i32 s1, s2, s16
	s_mov_b32 s16, 0
	s_wait_alu 0xfffe
	s_mul_i32 s1, s1, s22
	s_wait_alu 0xfffe
	v_mad_co_u64_u32 v[66:67], null, s1, s0, v[68:69]
	s_add_co_i32 s0, s0, 1
	s_wait_alu 0xfffe
	v_mad_co_u64_u32 v[68:69], null, s1, s0, v[68:69]
	s_mov_b32 s1, exec_lo
	v_cmpx_lt_i32_e64 v66, v68
	s_cbranch_execz .LBB2_4
; %bb.1:
	v_ashrrev_i32_e32 v67, 31, v66
	v_lshlrev_b32_e32 v0, 2, v0
	s_ashr_i32 s23, s22, 31
	s_delay_alu instid0(SALU_CYCLE_1) | instskip(NEXT) | instid1(VALU_DEP_2)
	s_lshl_b64 s[2:3], s[22:23], 2
	v_lshlrev_b64_e32 v[69:70], 2, v[66:67]
	v_mov_b32_e32 v67, 0
	v_add_nc_u32_e32 v71, 0x300, v0
	v_add_nc_u32_e32 v72, 0x400, v0
	;; [unrolled: 1-line block ×4, first 2 shown]
.LBB2_2:                                ; =>This Inner Loop Header: Depth=1
	v_add_co_u32 v75, vcc_lo, s4, v69
	s_wait_alu 0xfffd
	v_add_co_ci_u32_e64 v76, null, s5, v70, vcc_lo
	v_add_co_u32 v77, vcc_lo, s6, v69
	s_wait_alu 0xfffd
	v_add_co_ci_u32_e64 v78, null, s7, v70, vcc_lo
	;; [unrolled: 3-line block ×5, first 2 shown]
	s_wait_loadcnt 0x0
	s_barrier_signal -1
	s_barrier_wait -1
	global_inv scope:SCOPE_SE
	global_load_b32 v75, v[75:76], off
	global_load_b32 v76, v[77:78], off
	;; [unrolled: 1-line block ×5, first 2 shown]
	v_add_co_u32 v91, vcc_lo, s10, v69
	s_wait_alu 0xfffd
	v_add_co_ci_u32_e64 v92, null, s11, v70, vcc_lo
	s_wait_loadcnt 0x4
	ds_store_b32 v71, v75
	s_wait_loadcnt 0x3
	ds_store_b32 v72, v76
	;; [unrolled: 2-line block ×5, first 2 shown]
	s_wait_dscnt 0x0
	s_barrier_signal -1
	s_barrier_wait -1
	global_inv scope:SCOPE_SE
	ds_load_b128 v[75:78], v67
	ds_load_b128 v[79:82], v67 offset:1024
	ds_load_b128 v[83:86], v67 offset:16
	;; [unrolled: 1-line block ×3, first 2 shown]
	v_add_nc_u32_e32 v66, s22, v66
	s_delay_alu instid0(VALU_DEP_1) | instskip(SKIP_4) | instid1(VALU_DEP_1)
	v_cmp_ge_i32_e64 s0, v66, v68
	s_or_b32 s16, s0, s16
	s_wait_dscnt 0x3
	v_fma_f32 v75, v75, v61, 0
	s_wait_dscnt 0x2
	v_dual_fmac_f32 v75, v76, v62 :: v_dual_mul_f32 v62, v62, v80
	global_load_b32 v76, v[91:92], off
	v_fmac_f32_e32 v75, v77, v63
	v_mul_f32_e32 v63, v63, v81
	s_delay_alu instid0(VALU_DEP_2) | instskip(SKIP_1) | instid1(VALU_DEP_1)
	v_dual_fmac_f32 v75, v78, v64 :: v_dual_mul_f32 v64, v64, v82
	s_wait_dscnt 0x1
	v_fmac_f32_e32 v75, v83, v57
	s_delay_alu instid0(VALU_DEP_1)
	v_fmac_f32_e32 v75, v84, v58
	ds_load_b128 v[81:84], v67 offset:1056
	s_wait_dscnt 0x1
	v_dual_mul_f32 v61, v61, v79 :: v_dual_mul_f32 v58, v58, v88
	ds_load_b128 v[77:80], v67 offset:32
	v_fmac_f32_e32 v75, v85, v59
	v_mul_f32_e32 v57, v57, v87
	s_delay_alu instid0(VALU_DEP_2) | instskip(SKIP_4) | instid1(VALU_DEP_2)
	v_fmac_f32_e32 v75, v86, v60
	ds_load_b128 v[85:88], v67 offset:48
	s_wait_dscnt 0x1
	v_dual_mul_f32 v60, v60, v90 :: v_dual_fmac_f32 v75, v77, v53
	v_mul_f32_e32 v53, v53, v81
	v_fmac_f32_e32 v75, v78, v54
	s_delay_alu instid0(VALU_DEP_1) | instskip(SKIP_1) | instid1(VALU_DEP_2)
	v_dual_mul_f32 v54, v54, v82 :: v_dual_fmac_f32 v75, v79, v55
	v_mul_f32_e32 v55, v55, v83
	v_fmac_f32_e32 v75, v80, v56
	ds_load_b128 v[77:80], v67 offset:1072
	v_mul_f32_e32 v56, v56, v84
	ds_load_b128 v[81:84], v67 offset:64
	s_wait_dscnt 0x2
	v_fmac_f32_e32 v75, v85, v49
	s_delay_alu instid0(VALU_DEP_1) | instskip(NEXT) | instid1(VALU_DEP_1)
	v_fmac_f32_e32 v75, v86, v50
	v_fmac_f32_e32 v75, v87, v51
	s_delay_alu instid0(VALU_DEP_1)
	v_fmac_f32_e32 v75, v88, v52
	ds_load_b128 v[85:88], v67 offset:1088
	s_wait_dscnt 0x2
	v_dual_mul_f32 v49, v49, v77 :: v_dual_mul_f32 v50, v50, v78
	v_dual_mul_f32 v51, v51, v79 :: v_dual_mul_f32 v52, v52, v80
	ds_load_b128 v[77:80], v67 offset:80
	s_wait_dscnt 0x2
	v_fmac_f32_e32 v75, v81, v45
	v_mul_f32_e32 v59, v59, v89
	s_delay_alu instid0(VALU_DEP_2) | instskip(NEXT) | instid1(VALU_DEP_1)
	v_fmac_f32_e32 v75, v82, v46
	v_fmac_f32_e32 v75, v83, v47
	s_wait_dscnt 0x1
	v_mul_f32_e32 v45, v45, v85
	s_delay_alu instid0(VALU_DEP_2)
	v_fmac_f32_e32 v75, v84, v48
	ds_load_b128 v[81:84], v67 offset:1104
	v_dual_mul_f32 v46, v46, v86 :: v_dual_mul_f32 v47, v47, v87
	v_mul_f32_e32 v48, v48, v88
	ds_load_b128 v[85:88], v67 offset:96
	s_wait_dscnt 0x2
	v_fmac_f32_e32 v75, v77, v41
	s_delay_alu instid0(VALU_DEP_1) | instskip(NEXT) | instid1(VALU_DEP_1)
	v_fmac_f32_e32 v75, v78, v42
	v_fmac_f32_e32 v75, v79, v43
	s_delay_alu instid0(VALU_DEP_1)
	v_fmac_f32_e32 v75, v80, v44
	ds_load_b128 v[77:80], v67 offset:1120
	s_wait_dscnt 0x2
	v_dual_mul_f32 v41, v41, v81 :: v_dual_mul_f32 v42, v42, v82
	v_dual_mul_f32 v43, v43, v83 :: v_dual_mul_f32 v44, v44, v84
	ds_load_b128 v[81:84], v67 offset:112
	s_wait_dscnt 0x2
	v_fmac_f32_e32 v75, v85, v37
	s_delay_alu instid0(VALU_DEP_1) | instskip(NEXT) | instid1(VALU_DEP_1)
	v_fmac_f32_e32 v75, v86, v38
	v_fmac_f32_e32 v75, v87, v39
	s_wait_dscnt 0x1
	v_mul_f32_e32 v37, v37, v77
	s_delay_alu instid0(VALU_DEP_2)
	v_fmac_f32_e32 v75, v88, v40
	ds_load_b128 v[85:88], v67 offset:1136
	v_dual_mul_f32 v38, v38, v78 :: v_dual_mul_f32 v39, v39, v79
	v_mul_f32_e32 v40, v40, v80
	ds_load_b128 v[77:80], v67 offset:128
	s_wait_dscnt 0x2
	v_fmac_f32_e32 v75, v81, v33
	s_delay_alu instid0(VALU_DEP_1) | instskip(NEXT) | instid1(VALU_DEP_1)
	v_fmac_f32_e32 v75, v82, v34
	v_fmac_f32_e32 v75, v83, v35
	s_delay_alu instid0(VALU_DEP_1)
	v_fmac_f32_e32 v75, v84, v36
	ds_load_b128 v[81:84], v67 offset:1152
	s_wait_dscnt 0x2
	v_dual_mul_f32 v33, v33, v85 :: v_dual_mul_f32 v34, v34, v86
	v_dual_mul_f32 v35, v35, v87 :: v_dual_mul_f32 v36, v36, v88
	ds_load_b128 v[85:88], v67 offset:144
	s_wait_dscnt 0x2
	v_fmac_f32_e32 v75, v77, v29
	s_delay_alu instid0(VALU_DEP_1) | instskip(SKIP_1) | instid1(VALU_DEP_1)
	v_fmac_f32_e32 v75, v78, v30
	s_wait_dscnt 0x1
	v_dual_fmac_f32 v75, v79, v31 :: v_dual_mul_f32 v30, v30, v82
	s_delay_alu instid0(VALU_DEP_1)
	v_fmac_f32_e32 v75, v80, v32
	ds_load_b128 v[77:80], v67 offset:1168
	v_dual_mul_f32 v29, v29, v81 :: v_dual_mul_f32 v32, v32, v84
	v_mul_f32_e32 v31, v31, v83
	ds_load_b128 v[81:84], v67 offset:160
	s_wait_dscnt 0x2
	v_fmac_f32_e32 v75, v85, v25
	s_delay_alu instid0(VALU_DEP_1) | instskip(NEXT) | instid1(VALU_DEP_1)
	v_fmac_f32_e32 v75, v86, v26
	v_fmac_f32_e32 v75, v87, v27
	s_delay_alu instid0(VALU_DEP_1)
	v_fmac_f32_e32 v75, v88, v28
	ds_load_b128 v[85:88], v67 offset:1184
	s_wait_dscnt 0x2
	v_dual_mul_f32 v25, v25, v77 :: v_dual_mul_f32 v26, v26, v78
	v_dual_mul_f32 v27, v27, v79 :: v_dual_mul_f32 v28, v28, v80
	ds_load_b128 v[77:80], v67 offset:176
	s_wait_dscnt 0x2
	v_fmac_f32_e32 v75, v81, v21
	s_delay_alu instid0(VALU_DEP_1) | instskip(NEXT) | instid1(VALU_DEP_1)
	v_fmac_f32_e32 v75, v82, v22
	v_fmac_f32_e32 v75, v83, v23
	s_wait_dscnt 0x1
	v_mul_f32_e32 v21, v21, v85
	s_delay_alu instid0(VALU_DEP_2)
	v_fmac_f32_e32 v75, v84, v24
	ds_load_b128 v[81:84], v67 offset:1200
	v_dual_mul_f32 v22, v22, v86 :: v_dual_mul_f32 v23, v23, v87
	v_mul_f32_e32 v24, v24, v88
	ds_load_b128 v[85:88], v67 offset:192
	s_wait_dscnt 0x2
	v_fmac_f32_e32 v75, v77, v17
	s_delay_alu instid0(VALU_DEP_1) | instskip(NEXT) | instid1(VALU_DEP_1)
	v_fmac_f32_e32 v75, v78, v18
	v_fmac_f32_e32 v75, v79, v19
	s_delay_alu instid0(VALU_DEP_1)
	v_fmac_f32_e32 v75, v80, v20
	ds_load_b128 v[77:80], v67 offset:1216
	s_wait_dscnt 0x2
	v_dual_mul_f32 v17, v17, v81 :: v_dual_mul_f32 v18, v18, v82
	v_dual_mul_f32 v19, v19, v83 :: v_dual_mul_f32 v20, v20, v84
	ds_load_b128 v[81:84], v67 offset:208
	s_wait_dscnt 0x2
	v_fmac_f32_e32 v75, v85, v13
	s_delay_alu instid0(VALU_DEP_1) | instskip(NEXT) | instid1(VALU_DEP_1)
	v_fmac_f32_e32 v75, v86, v14
	v_fmac_f32_e32 v75, v87, v15
	s_wait_dscnt 0x1
	v_mul_f32_e32 v13, v13, v77
	s_delay_alu instid0(VALU_DEP_2)
	v_fmac_f32_e32 v75, v88, v16
	ds_load_b128 v[85:88], v67 offset:1232
	v_dual_mul_f32 v14, v14, v78 :: v_dual_mul_f32 v15, v15, v79
	v_mul_f32_e32 v16, v16, v80
	ds_load_b128 v[77:80], v67 offset:224
	s_wait_dscnt 0x2
	v_fmac_f32_e32 v75, v81, v9
	s_delay_alu instid0(VALU_DEP_1) | instskip(NEXT) | instid1(VALU_DEP_1)
	v_fmac_f32_e32 v75, v82, v10
	v_fmac_f32_e32 v75, v83, v11
	s_delay_alu instid0(VALU_DEP_1)
	v_fmac_f32_e32 v75, v84, v12
	ds_load_b128 v[81:84], v67 offset:1248
	s_wait_dscnt 0x2
	v_dual_mul_f32 v9, v9, v85 :: v_dual_mul_f32 v10, v10, v86
	v_dual_mul_f32 v11, v11, v87 :: v_dual_mul_f32 v12, v12, v88
	ds_load_b128 v[85:88], v67 offset:240
	s_wait_dscnt 0x2
	v_fmac_f32_e32 v75, v77, v5
	s_delay_alu instid0(VALU_DEP_1) | instskip(SKIP_1) | instid1(VALU_DEP_1)
	v_fmac_f32_e32 v75, v78, v6
	s_wait_dscnt 0x1
	v_dual_fmac_f32 v75, v79, v7 :: v_dual_mul_f32 v6, v6, v82
	s_delay_alu instid0(VALU_DEP_1) | instskip(SKIP_4) | instid1(VALU_DEP_1)
	v_fmac_f32_e32 v75, v80, v8
	ds_load_b128 v[77:80], v67 offset:1264
	v_dual_mul_f32 v7, v7, v83 :: v_dual_mul_f32 v8, v8, v84
	s_wait_dscnt 0x1
	v_fmac_f32_e32 v75, v85, v1
	v_fmac_f32_e32 v75, v86, v2
	s_delay_alu instid0(VALU_DEP_1) | instskip(NEXT) | instid1(VALU_DEP_1)
	v_fmac_f32_e32 v75, v87, v3
	v_fmac_f32_e32 v75, v88, v4
	v_mul_f32_e32 v5, v5, v81
	ds_load_b128 v[81:84], v67 offset:512
	ds_load_b128 v[89:92], v67 offset:528
	s_wait_dscnt 0x2
	v_dual_mul_f32 v1, v1, v77 :: v_dual_mul_f32 v2, v2, v78
	v_dual_mul_f32 v3, v3, v79 :: v_dual_mul_f32 v4, v4, v80
	s_wait_loadcnt_dscnt 0x1
	v_fmac_f32_e32 v61, v76, v81
	v_fmac_f32_e32 v62, v76, v82
	v_fmac_f32_e32 v63, v76, v83
	v_fmac_f32_e32 v64, v76, v84
	s_wait_dscnt 0x0
	v_fmac_f32_e32 v57, v76, v89
	v_fmac_f32_e32 v58, v76, v90
	v_fmac_f32_e32 v59, v76, v91
	v_fmac_f32_e32 v60, v76, v92
	ds_load_b128 v[81:84], v67 offset:544
	ds_load_b128 v[89:92], v67 offset:560
	s_wait_dscnt 0x1
	v_fmac_f32_e32 v53, v76, v81
	v_fmac_f32_e32 v54, v76, v82
	v_fmac_f32_e32 v55, v76, v83
	v_fmac_f32_e32 v56, v76, v84
	s_wait_dscnt 0x0
	v_fmac_f32_e32 v49, v76, v89
	v_fmac_f32_e32 v50, v76, v90
	v_fmac_f32_e32 v51, v76, v91
	v_fmac_f32_e32 v52, v76, v92
	ds_load_b128 v[81:84], v67 offset:576
	ds_load_b128 v[89:92], v67 offset:592
	s_wait_dscnt 0x1
	;; [unrolled: 12-line block ×6, first 2 shown]
	v_fmac_f32_e32 v13, v76, v81
	v_fmac_f32_e32 v14, v76, v82
	;; [unrolled: 1-line block ×4, first 2 shown]
	s_wait_dscnt 0x0
	v_fmac_f32_e32 v9, v76, v89
	v_fmac_f32_e32 v10, v76, v90
	;; [unrolled: 1-line block ×4, first 2 shown]
	ds_load_b128 v[81:84], v67 offset:736
	ds_load_b128 v[89:92], v67 offset:752
	;; [unrolled: 1-line block ×3, first 2 shown]
	s_wait_dscnt 0x2
	v_fmac_f32_e32 v5, v76, v81
	v_fmac_f32_e32 v6, v76, v82
	;; [unrolled: 1-line block ×4, first 2 shown]
	ds_load_b128 v[81:84], v67 offset:256
	s_wait_dscnt 0x1
	v_fmac_f32_e32 v57, v75, v77
	v_fmac_f32_e32 v58, v75, v78
	;; [unrolled: 1-line block ×4, first 2 shown]
	ds_load_b128 v[77:80], v67 offset:304
	v_fmac_f32_e32 v1, v76, v89
	v_fmac_f32_e32 v2, v76, v90
	;; [unrolled: 1-line block ×4, first 2 shown]
	v_add_co_u32 v76, vcc_lo, s18, v69
	s_wait_dscnt 0x1
	v_fmac_f32_e32 v61, v75, v81
	v_fmac_f32_e32 v62, v75, v82
	v_fmac_f32_e32 v63, v75, v83
	v_fmac_f32_e32 v64, v75, v84
	ds_load_b128 v[81:84], v67 offset:288
	s_wait_dscnt 0x1
	v_fmac_f32_e32 v49, v75, v77
	v_fmac_f32_e32 v50, v75, v78
	v_fmac_f32_e32 v51, v75, v79
	v_fmac_f32_e32 v52, v75, v80
	ds_load_b128 v[77:80], v67 offset:336
	;; [unrolled: 6-line block ×13, first 2 shown]
	s_wait_dscnt 0x1
	v_fmac_f32_e32 v1, v75, v77
	v_fmac_f32_e32 v2, v75, v78
	;; [unrolled: 1-line block ×4, first 2 shown]
	s_wait_alu 0xfffd
	v_add_co_ci_u32_e64 v77, null, s19, v70, vcc_lo
	s_wait_alu 0xfffe
	v_add_co_u32 v69, vcc_lo, v69, s2
	s_wait_alu 0xfffd
	v_add_co_ci_u32_e64 v70, null, s3, v70, vcc_lo
	s_wait_dscnt 0x0
	v_fmac_f32_e32 v5, v75, v81
	v_fmac_f32_e32 v6, v75, v82
	;; [unrolled: 1-line block ×4, first 2 shown]
	ds_load_b128 v[81:84], v67 offset:768
	ds_load_b128 v[85:88], v67 offset:784
	s_wait_dscnt 0x1
	v_fma_f32 v93, v61, v81, 0
	s_delay_alu instid0(VALU_DEP_1) | instskip(NEXT) | instid1(VALU_DEP_1)
	v_fmac_f32_e32 v93, v62, v82
	v_fmac_f32_e32 v93, v63, v83
	s_delay_alu instid0(VALU_DEP_1) | instskip(SKIP_1) | instid1(VALU_DEP_1)
	v_fmac_f32_e32 v93, v64, v84
	s_wait_dscnt 0x0
	v_fmac_f32_e32 v93, v57, v85
	s_delay_alu instid0(VALU_DEP_1) | instskip(NEXT) | instid1(VALU_DEP_1)
	v_fmac_f32_e32 v93, v58, v86
	v_fmac_f32_e32 v93, v59, v87
	s_delay_alu instid0(VALU_DEP_1) | instskip(SKIP_4) | instid1(VALU_DEP_1)
	v_fmac_f32_e32 v93, v60, v88
	ds_load_b128 v[81:84], v67 offset:800
	ds_load_b128 v[85:88], v67 offset:816
	s_wait_dscnt 0x1
	v_fmac_f32_e32 v93, v53, v81
	v_fmac_f32_e32 v93, v54, v82
	s_delay_alu instid0(VALU_DEP_1) | instskip(NEXT) | instid1(VALU_DEP_1)
	v_fmac_f32_e32 v93, v55, v83
	v_fmac_f32_e32 v93, v56, v84
	s_wait_dscnt 0x0
	s_delay_alu instid0(VALU_DEP_1) | instskip(NEXT) | instid1(VALU_DEP_1)
	v_fmac_f32_e32 v93, v49, v85
	v_fmac_f32_e32 v93, v50, v86
	s_delay_alu instid0(VALU_DEP_1) | instskip(NEXT) | instid1(VALU_DEP_1)
	v_fmac_f32_e32 v93, v51, v87
	v_fmac_f32_e32 v93, v52, v88
	ds_load_b128 v[81:84], v67 offset:832
	ds_load_b128 v[85:88], v67 offset:848
	s_wait_dscnt 0x1
	v_fmac_f32_e32 v93, v45, v81
	s_delay_alu instid0(VALU_DEP_1) | instskip(NEXT) | instid1(VALU_DEP_1)
	v_fmac_f32_e32 v93, v46, v82
	v_fmac_f32_e32 v93, v47, v83
	s_delay_alu instid0(VALU_DEP_1) | instskip(SKIP_1) | instid1(VALU_DEP_1)
	v_fmac_f32_e32 v93, v48, v84
	s_wait_dscnt 0x0
	v_fmac_f32_e32 v93, v41, v85
	s_delay_alu instid0(VALU_DEP_1) | instskip(NEXT) | instid1(VALU_DEP_1)
	v_fmac_f32_e32 v93, v42, v86
	v_fmac_f32_e32 v93, v43, v87
	s_delay_alu instid0(VALU_DEP_1) | instskip(SKIP_4) | instid1(VALU_DEP_1)
	v_fmac_f32_e32 v93, v44, v88
	ds_load_b128 v[81:84], v67 offset:864
	ds_load_b128 v[85:88], v67 offset:880
	s_wait_dscnt 0x1
	v_fmac_f32_e32 v93, v37, v81
	v_fmac_f32_e32 v93, v38, v82
	s_delay_alu instid0(VALU_DEP_1) | instskip(NEXT) | instid1(VALU_DEP_1)
	v_fmac_f32_e32 v93, v39, v83
	v_fmac_f32_e32 v93, v40, v84
	s_wait_dscnt 0x0
	s_delay_alu instid0(VALU_DEP_1) | instskip(NEXT) | instid1(VALU_DEP_1)
	v_fmac_f32_e32 v93, v33, v85
	v_fmac_f32_e32 v93, v34, v86
	s_delay_alu instid0(VALU_DEP_1) | instskip(NEXT) | instid1(VALU_DEP_1)
	v_fmac_f32_e32 v93, v35, v87
	v_fmac_f32_e32 v93, v36, v88
	ds_load_b128 v[81:84], v67 offset:896
	ds_load_b128 v[85:88], v67 offset:912
	s_wait_dscnt 0x1
	v_fmac_f32_e32 v93, v29, v81
	;; [unrolled: 31-line block ×3, first 2 shown]
	s_delay_alu instid0(VALU_DEP_1) | instskip(NEXT) | instid1(VALU_DEP_1)
	v_fmac_f32_e32 v93, v14, v82
	v_fmac_f32_e32 v93, v15, v83
	s_delay_alu instid0(VALU_DEP_1) | instskip(SKIP_1) | instid1(VALU_DEP_1)
	v_fmac_f32_e32 v93, v16, v84
	s_wait_dscnt 0x0
	v_fmac_f32_e32 v93, v9, v85
	s_delay_alu instid0(VALU_DEP_1) | instskip(NEXT) | instid1(VALU_DEP_1)
	v_fmac_f32_e32 v93, v10, v86
	v_fmac_f32_e32 v93, v11, v87
	s_delay_alu instid0(VALU_DEP_1) | instskip(SKIP_4) | instid1(VALU_DEP_1)
	v_fmac_f32_e32 v93, v12, v88
	ds_load_b128 v[81:84], v67 offset:992
	ds_load_b128 v[85:88], v67 offset:1008
	s_wait_dscnt 0x1
	v_fmac_f32_e32 v93, v5, v81
	v_fmac_f32_e32 v93, v6, v82
	s_delay_alu instid0(VALU_DEP_1) | instskip(NEXT) | instid1(VALU_DEP_1)
	v_fmac_f32_e32 v93, v7, v83
	v_fmac_f32_e32 v93, v8, v84
	s_wait_dscnt 0x0
	s_delay_alu instid0(VALU_DEP_1) | instskip(NEXT) | instid1(VALU_DEP_1)
	v_fmac_f32_e32 v93, v1, v85
	v_fmac_f32_e32 v93, v2, v86
	s_delay_alu instid0(VALU_DEP_1) | instskip(NEXT) | instid1(VALU_DEP_1)
	v_fmac_f32_e32 v93, v3, v87
	v_fmac_f32_e32 v93, v4, v88
	global_store_b32 v[76:77], v93, off
	s_and_not1_b32 exec_lo, exec_lo, s16
	s_cbranch_execnz .LBB2_2
; %bb.3:
	s_or_b32 exec_lo, exec_lo, s16
.LBB2_4:
	s_wait_alu 0xfffe
	s_or_b32 exec_lo, exec_lo, s1
	v_mad_co_u64_u32 v[65:66], null, s22, s21, v[65:66]
	s_delay_alu instid0(VALU_DEP_1) | instskip(NEXT) | instid1(VALU_DEP_1)
	v_ashrrev_i32_e32 v66, 31, v65
	v_lshlrev_b64_e32 v[65:66], 2, v[65:66]
	s_delay_alu instid0(VALU_DEP_1) | instskip(SKIP_1) | instid1(VALU_DEP_2)
	v_add_co_u32 v65, vcc_lo, s18, v65
	s_wait_alu 0xfffd
	v_add_co_ci_u32_e64 v66, null, s19, v66, vcc_lo
	s_wait_loadcnt 0xf
	global_store_b128 v[65:66], v[61:64], off
	s_wait_loadcnt 0xe
	global_store_b128 v[65:66], v[57:60], off offset:16
	s_wait_loadcnt 0xd
	global_store_b128 v[65:66], v[53:56], off offset:32
	;; [unrolled: 2-line block ×15, first 2 shown]
	s_endpgm
	.section	.rodata,"a",@progbits
	.p2align	6, 0x0
	.amdhsa_kernel _ZL13rwkv_wkv7_f32ILi64EEviiiiPKfS1_S1_S1_S1_S1_S1_Pf
		.amdhsa_group_segment_fixed_size 1280
		.amdhsa_private_segment_fixed_size 0
		.amdhsa_kernarg_size 80
		.amdhsa_user_sgpr_count 2
		.amdhsa_user_sgpr_dispatch_ptr 0
		.amdhsa_user_sgpr_queue_ptr 0
		.amdhsa_user_sgpr_kernarg_segment_ptr 1
		.amdhsa_user_sgpr_dispatch_id 0
		.amdhsa_user_sgpr_private_segment_size 0
		.amdhsa_wavefront_size32 1
		.amdhsa_uses_dynamic_stack 0
		.amdhsa_enable_private_segment 0
		.amdhsa_system_sgpr_workgroup_id_x 1
		.amdhsa_system_sgpr_workgroup_id_y 0
		.amdhsa_system_sgpr_workgroup_id_z 0
		.amdhsa_system_sgpr_workgroup_info 0
		.amdhsa_system_vgpr_workitem_id 0
		.amdhsa_next_free_vgpr 94
		.amdhsa_next_free_sgpr 25
		.amdhsa_reserve_vcc 1
		.amdhsa_float_round_mode_32 0
		.amdhsa_float_round_mode_16_64 0
		.amdhsa_float_denorm_mode_32 3
		.amdhsa_float_denorm_mode_16_64 3
		.amdhsa_fp16_overflow 0
		.amdhsa_workgroup_processor_mode 1
		.amdhsa_memory_ordered 1
		.amdhsa_forward_progress 1
		.amdhsa_inst_pref_size 31
		.amdhsa_round_robin_scheduling 0
		.amdhsa_exception_fp_ieee_invalid_op 0
		.amdhsa_exception_fp_denorm_src 0
		.amdhsa_exception_fp_ieee_div_zero 0
		.amdhsa_exception_fp_ieee_overflow 0
		.amdhsa_exception_fp_ieee_underflow 0
		.amdhsa_exception_fp_ieee_inexact 0
		.amdhsa_exception_int_div_zero 0
	.end_amdhsa_kernel
	.section	.text._ZL13rwkv_wkv7_f32ILi64EEviiiiPKfS1_S1_S1_S1_S1_S1_Pf,"axG",@progbits,_ZL13rwkv_wkv7_f32ILi64EEviiiiPKfS1_S1_S1_S1_S1_S1_Pf,comdat
.Lfunc_end2:
	.size	_ZL13rwkv_wkv7_f32ILi64EEviiiiPKfS1_S1_S1_S1_S1_S1_Pf, .Lfunc_end2-_ZL13rwkv_wkv7_f32ILi64EEviiiiPKfS1_S1_S1_S1_S1_S1_Pf
                                        ; -- End function
	.set _ZL13rwkv_wkv7_f32ILi64EEviiiiPKfS1_S1_S1_S1_S1_S1_Pf.num_vgpr, 94
	.set _ZL13rwkv_wkv7_f32ILi64EEviiiiPKfS1_S1_S1_S1_S1_S1_Pf.num_agpr, 0
	.set _ZL13rwkv_wkv7_f32ILi64EEviiiiPKfS1_S1_S1_S1_S1_S1_Pf.numbered_sgpr, 25
	.set _ZL13rwkv_wkv7_f32ILi64EEviiiiPKfS1_S1_S1_S1_S1_S1_Pf.num_named_barrier, 0
	.set _ZL13rwkv_wkv7_f32ILi64EEviiiiPKfS1_S1_S1_S1_S1_S1_Pf.private_seg_size, 0
	.set _ZL13rwkv_wkv7_f32ILi64EEviiiiPKfS1_S1_S1_S1_S1_S1_Pf.uses_vcc, 1
	.set _ZL13rwkv_wkv7_f32ILi64EEviiiiPKfS1_S1_S1_S1_S1_S1_Pf.uses_flat_scratch, 0
	.set _ZL13rwkv_wkv7_f32ILi64EEviiiiPKfS1_S1_S1_S1_S1_S1_Pf.has_dyn_sized_stack, 0
	.set _ZL13rwkv_wkv7_f32ILi64EEviiiiPKfS1_S1_S1_S1_S1_S1_Pf.has_recursion, 0
	.set _ZL13rwkv_wkv7_f32ILi64EEviiiiPKfS1_S1_S1_S1_S1_S1_Pf.has_indirect_call, 0
	.section	.AMDGPU.csdata,"",@progbits
; Kernel info:
; codeLenInByte = 3908
; TotalNumSgprs: 27
; NumVgprs: 94
; ScratchSize: 0
; MemoryBound: 0
; FloatMode: 240
; IeeeMode: 1
; LDSByteSize: 1280 bytes/workgroup (compile time only)
; SGPRBlocks: 0
; VGPRBlocks: 11
; NumSGPRsForWavesPerEU: 27
; NumVGPRsForWavesPerEU: 94
; Occupancy: 16
; WaveLimiterHint : 0
; COMPUTE_PGM_RSRC2:SCRATCH_EN: 0
; COMPUTE_PGM_RSRC2:USER_SGPR: 2
; COMPUTE_PGM_RSRC2:TRAP_HANDLER: 0
; COMPUTE_PGM_RSRC2:TGID_X_EN: 1
; COMPUTE_PGM_RSRC2:TGID_Y_EN: 0
; COMPUTE_PGM_RSRC2:TGID_Z_EN: 0
; COMPUTE_PGM_RSRC2:TIDIG_COMP_CNT: 0
	.section	.text._ZL13rwkv_wkv7_f32ILi128EEviiiiPKfS1_S1_S1_S1_S1_S1_Pf,"axG",@progbits,_ZL13rwkv_wkv7_f32ILi128EEviiiiPKfS1_S1_S1_S1_S1_S1_Pf,comdat
	.globl	_ZL13rwkv_wkv7_f32ILi128EEviiiiPKfS1_S1_S1_S1_S1_S1_Pf ; -- Begin function _ZL13rwkv_wkv7_f32ILi128EEviiiiPKfS1_S1_S1_S1_S1_S1_Pf
	.p2align	8
	.type	_ZL13rwkv_wkv7_f32ILi128EEviiiiPKfS1_S1_S1_S1_S1_S1_Pf,@function
_ZL13rwkv_wkv7_f32ILi128EEviiiiPKfS1_S1_S1_S1_S1_S1_Pf: ; @_ZL13rwkv_wkv7_f32ILi128EEviiiiPKfS1_S1_S1_S1_S1_S1_Pf
; %bb.0:
	s_load_b128 s[20:23], s[0:1], 0x0
	s_abs_i32 s5, ttmp9
	s_wait_kmcnt 0x0
	s_abs_i32 s2, s23
	s_delay_alu instid0(SALU_CYCLE_1) | instskip(SKIP_1) | instid1(SALU_CYCLE_2)
	s_cvt_f32_u32 s3, s2
	s_sub_co_i32 s4, 0, s2
	v_rcp_iflag_f32_e32 v1, s3
	s_delay_alu instid0(TRANS32_DEP_1) | instskip(SKIP_3) | instid1(SALU_CYCLE_2)
	v_readfirstlane_b32 s3, v1
	v_lshlrev_b32_e32 v1, 7, v0
	s_mul_f32 s3, s3, 0x4f7ffffe
	s_wait_alu 0xfffe
	s_cvt_u32_f32 s3, s3
	s_wait_alu 0xfffe
	s_delay_alu instid0(SALU_CYCLE_2) | instskip(NEXT) | instid1(SALU_CYCLE_1)
	s_mul_i32 s4, s4, s3
	s_mul_hi_u32 s4, s3, s4
	s_delay_alu instid0(SALU_CYCLE_1)
	s_add_co_i32 s3, s3, s4
	s_xor_b32 s4, ttmp9, s23
	s_wait_alu 0xfffe
	s_mul_hi_u32 s3, s5, s3
	s_ashr_i32 s24, s4, 31
	s_wait_alu 0xfffe
	s_mul_i32 s6, s3, s2
	s_delay_alu instid0(SALU_CYCLE_1)
	s_sub_co_i32 s4, s5, s6
	s_add_co_i32 s5, s3, 1
	s_sub_co_i32 s6, s4, s2
	s_cmp_ge_u32 s4, s2
	s_cselect_b32 s3, s5, s3
	s_cselect_b32 s4, s6, s4
	s_wait_alu 0xfffe
	s_add_co_i32 s5, s3, 1
	s_cmp_ge_u32 s4, s2
	s_cselect_b32 s2, s5, s3
	s_load_b512 s[4:19], s[0:1], 0x10
	s_xor_b32 s2, s2, s24
	s_wait_alu 0xfffe
	s_sub_co_i32 s0, s2, s24
	s_delay_alu instid0(SALU_CYCLE_1)
	s_mul_i32 s1, s0, s23
	s_mul_i32 s2, s22, s0
	s_sub_co_i32 s1, ttmp9, s1
	s_wait_alu 0xfffe
	s_lshl_b32 s2, s2, 7
	s_lshl_b32 s3, s1, 14
	s_wait_alu 0xfffe
	v_add3_u32 v137, s3, s2, v1
	s_abs_i32 s2, s20
	s_wait_alu 0xfffe
	s_cvt_f32_u32 s3, s2
	s_delay_alu instid0(VALU_DEP_1) | instskip(SKIP_1) | instid1(SALU_CYCLE_1)
	v_ashrrev_i32_e32 v138, 31, v137
	s_wait_alu 0xfffe
	v_rcp_iflag_f32_e32 v129, s3
	s_delay_alu instid0(VALU_DEP_1) | instskip(SKIP_1) | instid1(VALU_DEP_1)
	v_lshlrev_b64_e32 v[1:2], 2, v[137:138]
	s_wait_kmcnt 0x0
	v_add_co_u32 v1, vcc_lo, s16, v1
	s_delay_alu instid0(VALU_DEP_1) | instskip(NEXT) | instid1(TRANS32_DEP_1)
	v_add_co_ci_u32_e64 v2, null, s17, v2, vcc_lo
	v_readfirstlane_b32 s3, v129
	s_sub_co_i32 s16, 0, s2
	s_abs_i32 s17, s21
	s_clause 0x1f
	global_load_b128 v[125:128], v[1:2], off
	global_load_b128 v[121:124], v[1:2], off offset:16
	global_load_b128 v[117:120], v[1:2], off offset:32
	;; [unrolled: 1-line block ×31, first 2 shown]
	v_lshl_add_u32 v129, s1, 7, v0
	s_mul_f32 s3, s3, 0x4f7ffffe
	s_wait_alu 0xfffe
	s_delay_alu instid0(SALU_CYCLE_2) | instskip(SKIP_1) | instid1(SALU_CYCLE_2)
	s_cvt_u32_f32 s3, s3
	s_wait_alu 0xfffe
	s_mul_i32 s16, s16, s3
	s_wait_alu 0xfffe
	s_mul_hi_u32 s16, s3, s16
	s_wait_alu 0xfffe
	s_add_co_i32 s3, s3, s16
	s_xor_b32 s16, s21, s20
	s_wait_alu 0xfffe
	s_mul_hi_u32 s3, s17, s3
	s_ashr_i32 s16, s16, 31
	s_wait_alu 0xfffe
	s_mul_i32 s20, s3, s2
	s_delay_alu instid0(SALU_CYCLE_1)
	s_sub_co_i32 s17, s17, s20
	s_add_co_i32 s20, s3, 1
	s_wait_alu 0xfffe
	s_sub_co_i32 s23, s17, s2
	s_cmp_ge_u32 s17, s2
	s_cselect_b32 s3, s20, s3
	s_cselect_b32 s17, s23, s17
	s_wait_alu 0xfffe
	s_add_co_i32 s20, s3, 1
	s_cmp_ge_u32 s17, s2
	s_cselect_b32 s2, s20, s3
	s_wait_alu 0xfffe
	s_xor_b32 s2, s2, s16
	s_wait_alu 0xfffe
	s_sub_co_i32 s1, s2, s16
	s_add_co_i32 s2, s0, 1
	s_wait_alu 0xfffe
	s_mul_i32 s1, s1, s22
	s_mov_b32 s16, 0
	s_wait_alu 0xfffe
	v_mad_co_u64_u32 v[138:139], null, s1, s0, v[129:130]
	v_mad_co_u64_u32 v[140:141], null, s1, s2, v[129:130]
	s_mov_b32 s1, exec_lo
	v_cmpx_lt_i32_e64 v138, v140
	s_cbranch_execz .LBB3_4
; %bb.1:
	v_ashrrev_i32_e32 v139, 31, v138
	v_lshlrev_b32_e32 v0, 2, v0
	s_ashr_i32 s23, s22, 31
	s_delay_alu instid0(SALU_CYCLE_1) | instskip(NEXT) | instid1(VALU_DEP_2)
	s_lshl_b64 s[2:3], s[22:23], 2
	v_lshlrev_b64_e32 v[141:142], 2, v[138:139]
	v_mov_b32_e32 v139, 0
	v_add_nc_u32_e32 v145, 0x600, v0
	v_add_nc_u32_e32 v146, 0x800, v0
	;; [unrolled: 1-line block ×4, first 2 shown]
.LBB3_2:                                ; =>This Inner Loop Header: Depth=1
	v_add_co_u32 v129, vcc_lo, s4, v141
	s_wait_alu 0xfffd
	v_add_co_ci_u32_e64 v130, null, s5, v142, vcc_lo
	v_add_co_u32 v131, vcc_lo, s6, v141
	s_wait_alu 0xfffd
	v_add_co_ci_u32_e64 v132, null, s7, v142, vcc_lo
	;; [unrolled: 3-line block ×5, first 2 shown]
	s_wait_loadcnt 0x0
	s_barrier_signal -1
	s_barrier_wait -1
	global_inv scope:SCOPE_SE
	global_load_b32 v129, v[129:130], off
	global_load_b32 v130, v[131:132], off
	;; [unrolled: 1-line block ×5, first 2 shown]
	v_add_co_u32 v161, vcc_lo, s10, v141
	s_wait_alu 0xfffd
	v_add_co_ci_u32_e64 v162, null, s11, v142, vcc_lo
	s_wait_loadcnt 0x4
	ds_store_b32 v145, v129
	s_wait_loadcnt 0x3
	ds_store_b32 v146, v130
	;; [unrolled: 2-line block ×5, first 2 shown]
	s_wait_dscnt 0x0
	s_barrier_signal -1
	s_barrier_wait -1
	global_inv scope:SCOPE_SE
	ds_load_b128 v[129:132], v139
	ds_load_b128 v[133:136], v139 offset:16
	ds_load_b128 v[149:152], v139 offset:2048
	;; [unrolled: 1-line block ×4, first 2 shown]
	global_load_b32 v144, v[161:162], off
	ds_load_b128 v[161:164], v139 offset:1504
	v_add_nc_u32_e32 v138, s22, v138
	s_delay_alu instid0(VALU_DEP_1)
	v_cmp_ge_i32_e64 s0, v138, v140
	s_or_b32 s16, s0, s16
	s_wait_dscnt 0x5
	v_fma_f32 v143, v129, v125, 0
	s_wait_dscnt 0x3
	v_mul_f32_e32 v125, v125, v149
	s_delay_alu instid0(VALU_DEP_2) | instskip(NEXT) | instid1(VALU_DEP_1)
	v_fmac_f32_e32 v143, v130, v126
	v_dual_mul_f32 v126, v126, v150 :: v_dual_fmac_f32 v143, v131, v127
	s_delay_alu instid0(VALU_DEP_1) | instskip(SKIP_2) | instid1(VALU_DEP_1)
	v_fmac_f32_e32 v143, v132, v128
	ds_load_b128 v[129:132], v139 offset:2080
	v_dual_mul_f32 v128, v128, v152 :: v_dual_fmac_f32 v143, v133, v121
	v_fmac_f32_e32 v143, v134, v122
	s_wait_dscnt 0x3
	s_delay_alu instid0(VALU_DEP_1) | instskip(SKIP_1) | instid1(VALU_DEP_2)
	v_dual_mul_f32 v122, v122, v154 :: v_dual_fmac_f32 v143, v135, v123
	v_mul_f32_e32 v123, v123, v155
	v_fmac_f32_e32 v143, v136, v124
	ds_load_b128 v[133:136], v139 offset:2096
	v_mul_f32_e32 v127, v127, v151
	ds_load_b128 v[149:152], v139 offset:48
	s_wait_dscnt 0x4
	v_dual_mul_f32 v124, v124, v156 :: v_dual_fmac_f32 v143, v157, v117
	s_wait_dscnt 0x2
	v_mul_f32_e32 v117, v117, v129
	s_delay_alu instid0(VALU_DEP_2) | instskip(NEXT) | instid1(VALU_DEP_1)
	v_fmac_f32_e32 v143, v158, v118
	v_dual_mul_f32 v118, v118, v130 :: v_dual_fmac_f32 v143, v159, v119
	v_mul_f32_e32 v119, v119, v131
	s_delay_alu instid0(VALU_DEP_2)
	v_fmac_f32_e32 v143, v160, v120
	ds_load_b128 v[157:160], v139 offset:2112
	v_mul_f32_e32 v121, v121, v153
	ds_load_b128 v[153:156], v139 offset:64
	s_wait_dscnt 0x2
	v_dual_mul_f32 v120, v120, v132 :: v_dual_fmac_f32 v143, v149, v113
	ds_load_b128 v[129:132], v139 offset:80
	v_mul_f32_e32 v113, v113, v133
	v_fmac_f32_e32 v143, v150, v114
	s_delay_alu instid0(VALU_DEP_1) | instskip(SKIP_1) | instid1(VALU_DEP_2)
	v_dual_mul_f32 v114, v114, v134 :: v_dual_fmac_f32 v143, v151, v115
	v_mul_f32_e32 v115, v115, v135
	v_fmac_f32_e32 v143, v152, v116
	v_mul_f32_e32 v116, v116, v136
	ds_load_b128 v[133:136], v139 offset:96
	ds_load_b128 v[149:152], v139 offset:2128
	s_wait_dscnt 0x3
	v_fmac_f32_e32 v143, v153, v109
	v_mul_f32_e32 v109, v109, v157
	s_delay_alu instid0(VALU_DEP_2) | instskip(NEXT) | instid1(VALU_DEP_1)
	v_fmac_f32_e32 v143, v154, v110
	v_dual_mul_f32 v110, v110, v158 :: v_dual_fmac_f32 v143, v155, v111
	v_mul_f32_e32 v111, v111, v159
	s_delay_alu instid0(VALU_DEP_2)
	v_fmac_f32_e32 v143, v156, v112
	v_mul_f32_e32 v112, v112, v160
	ds_load_b128 v[157:160], v139 offset:112
	ds_load_b128 v[153:156], v139 offset:2144
	s_wait_dscnt 0x4
	v_fmac_f32_e32 v143, v129, v105
	s_wait_dscnt 0x2
	v_mul_f32_e32 v105, v105, v149
	s_delay_alu instid0(VALU_DEP_2) | instskip(NEXT) | instid1(VALU_DEP_1)
	v_fmac_f32_e32 v143, v130, v106
	v_dual_mul_f32 v106, v106, v150 :: v_dual_fmac_f32 v143, v131, v107
	v_mul_f32_e32 v107, v107, v151
	s_delay_alu instid0(VALU_DEP_2)
	v_fmac_f32_e32 v143, v132, v108
	ds_load_b128 v[129:132], v139 offset:2160
	v_mul_f32_e32 v108, v108, v152
	ds_load_b128 v[149:152], v139 offset:128
	v_fmac_f32_e32 v143, v133, v101
	s_wait_dscnt 0x2
	v_mul_f32_e32 v101, v101, v153
	s_delay_alu instid0(VALU_DEP_2) | instskip(NEXT) | instid1(VALU_DEP_1)
	v_fmac_f32_e32 v143, v134, v102
	v_dual_mul_f32 v102, v102, v154 :: v_dual_fmac_f32 v143, v135, v103
	v_mul_f32_e32 v103, v103, v155
	s_delay_alu instid0(VALU_DEP_2)
	v_fmac_f32_e32 v143, v136, v104
	ds_load_b128 v[133:136], v139 offset:2176
	v_mul_f32_e32 v104, v104, v156
	ds_load_b128 v[153:156], v139 offset:144
	v_fmac_f32_e32 v143, v157, v97
	s_wait_dscnt 0x3
	v_mul_f32_e32 v97, v97, v129
	s_delay_alu instid0(VALU_DEP_2) | instskip(NEXT) | instid1(VALU_DEP_1)
	v_fmac_f32_e32 v143, v158, v98
	v_dual_mul_f32 v98, v98, v130 :: v_dual_fmac_f32 v143, v159, v99
	v_mul_f32_e32 v99, v99, v131
	s_delay_alu instid0(VALU_DEP_2)
	v_fmac_f32_e32 v143, v160, v100
	v_mul_f32_e32 v100, v100, v132
	ds_load_b128 v[157:160], v139 offset:2192
	ds_load_b128 v[129:132], v139 offset:160
	s_wait_dscnt 0x4
	v_fmac_f32_e32 v143, v149, v93
	s_delay_alu instid0(VALU_DEP_1) | instskip(SKIP_1) | instid1(VALU_DEP_1)
	v_fmac_f32_e32 v143, v150, v94
	s_wait_dscnt 0x3
	v_dual_mul_f32 v94, v94, v134 :: v_dual_fmac_f32 v143, v151, v95
	s_delay_alu instid0(VALU_DEP_1)
	v_fmac_f32_e32 v143, v152, v96
	v_dual_mul_f32 v96, v96, v136 :: v_dual_mul_f32 v93, v93, v133
	ds_load_b128 v[149:152], v139 offset:2208
	s_wait_dscnt 0x3
	v_fmac_f32_e32 v143, v153, v89
	s_wait_dscnt 0x2
	v_mul_f32_e32 v89, v89, v157
	s_delay_alu instid0(VALU_DEP_2) | instskip(SKIP_4) | instid1(VALU_DEP_2)
	v_fmac_f32_e32 v143, v154, v90
	v_dual_mul_f32 v90, v90, v158 :: v_dual_mul_f32 v95, v95, v135
	ds_load_b128 v[133:136], v139 offset:176
	v_fmac_f32_e32 v143, v155, v91
	v_mul_f32_e32 v91, v91, v159
	v_fmac_f32_e32 v143, v156, v92
	v_mul_f32_e32 v92, v92, v160
	ds_load_b128 v[157:160], v139 offset:192
	ds_load_b128 v[153:156], v139 offset:2224
	s_wait_dscnt 0x4
	v_fmac_f32_e32 v143, v129, v85
	s_wait_dscnt 0x3
	v_mul_f32_e32 v85, v85, v149
	s_delay_alu instid0(VALU_DEP_2) | instskip(NEXT) | instid1(VALU_DEP_1)
	v_fmac_f32_e32 v143, v130, v86
	v_dual_mul_f32 v86, v86, v150 :: v_dual_fmac_f32 v143, v131, v87
	v_mul_f32_e32 v87, v87, v151
	s_delay_alu instid0(VALU_DEP_2)
	v_fmac_f32_e32 v143, v132, v88
	v_mul_f32_e32 v88, v88, v152
	ds_load_b128 v[149:152], v139 offset:208
	ds_load_b128 v[129:132], v139 offset:2240
	s_wait_dscnt 0x4
	v_fmac_f32_e32 v143, v133, v77
	s_wait_dscnt 0x2
	v_mul_f32_e32 v77, v77, v153
	s_delay_alu instid0(VALU_DEP_2) | instskip(NEXT) | instid1(VALU_DEP_1)
	v_fmac_f32_e32 v143, v134, v78
	v_dual_mul_f32 v78, v78, v154 :: v_dual_fmac_f32 v143, v135, v79
	v_mul_f32_e32 v79, v79, v155
	s_delay_alu instid0(VALU_DEP_2)
	v_fmac_f32_e32 v143, v136, v80
	v_mul_f32_e32 v80, v80, v156
	ds_load_b128 v[153:156], v139 offset:224
	ds_load_b128 v[133:136], v139 offset:2256
	v_fmac_f32_e32 v143, v157, v81
	s_wait_dscnt 0x2
	v_mul_f32_e32 v81, v81, v129
	s_delay_alu instid0(VALU_DEP_2) | instskip(NEXT) | instid1(VALU_DEP_1)
	v_fmac_f32_e32 v143, v158, v82
	v_dual_mul_f32 v82, v82, v130 :: v_dual_fmac_f32 v143, v159, v83
	v_mul_f32_e32 v83, v83, v131
	s_delay_alu instid0(VALU_DEP_2)
	v_fmac_f32_e32 v143, v160, v84
	ds_load_b128 v[157:160], v139 offset:2272
	v_mul_f32_e32 v84, v84, v132
	ds_load_b128 v[129:132], v139 offset:1024
	v_fmac_f32_e32 v143, v149, v73
	s_wait_dscnt 0x2
	v_mul_f32_e32 v73, v73, v133
	s_delay_alu instid0(VALU_DEP_2) | instskip(NEXT) | instid1(VALU_DEP_1)
	v_fmac_f32_e32 v143, v150, v74
	v_dual_mul_f32 v74, v74, v134 :: v_dual_fmac_f32 v143, v151, v75
	v_mul_f32_e32 v75, v75, v135
	s_delay_alu instid0(VALU_DEP_2) | instskip(SKIP_4) | instid1(VALU_DEP_1)
	v_fmac_f32_e32 v143, v152, v76
	ds_load_b128 v[149:152], v139 offset:1040
	v_mul_f32_e32 v76, v76, v136
	ds_load_b128 v[133:136], v139 offset:240
	v_fmac_f32_e32 v143, v153, v69
	v_fmac_f32_e32 v143, v154, v70
	s_delay_alu instid0(VALU_DEP_1) | instskip(NEXT) | instid1(VALU_DEP_1)
	v_fmac_f32_e32 v143, v155, v71
	v_fmac_f32_e32 v143, v156, v72
	ds_load_b128 v[153:156], v139 offset:2288
	s_wait_dscnt 0x4
	v_dual_mul_f32 v69, v69, v157 :: v_dual_mul_f32 v70, v70, v158
	v_dual_mul_f32 v71, v71, v159 :: v_dual_mul_f32 v72, v72, v160
	ds_load_b128 v[157:160], v139 offset:1056
	s_wait_loadcnt_dscnt 0x4
	v_fmac_f32_e32 v125, v144, v129
	v_fmac_f32_e32 v126, v144, v130
	v_fmac_f32_e32 v127, v144, v131
	v_fmac_f32_e32 v128, v144, v132
	ds_load_b128 v[129:132], v139 offset:1072
	s_wait_dscnt 0x4
	v_fmac_f32_e32 v121, v144, v149
	v_fmac_f32_e32 v122, v144, v150
	v_fmac_f32_e32 v123, v144, v151
	v_fmac_f32_e32 v124, v144, v152
	ds_load_b128 v[149:152], v139 offset:1088
	s_wait_dscnt 0x2
	;; [unrolled: 6-line block ×8, first 2 shown]
	v_fmac_f32_e32 v94, v144, v158
	v_fmac_f32_e32 v96, v144, v160
	;; [unrolled: 1-line block ×3, first 2 shown]
	s_wait_dscnt 0x1
	v_fmac_f32_e32 v90, v144, v130
	v_fmac_f32_e32 v95, v144, v159
	ds_load_b128 v[157:160], v139 offset:1200
	v_fmac_f32_e32 v92, v144, v132
	s_wait_dscnt 0x1
	v_fmac_f32_e32 v85, v144, v149
	v_fmac_f32_e32 v86, v144, v150
	;; [unrolled: 1-line block ×4, first 2 shown]
	ds_load_b128 v[149:152], v139 offset:1232
	s_wait_dscnt 0x1
	v_fmac_f32_e32 v78, v144, v158
	v_fmac_f32_e32 v89, v144, v129
	;; [unrolled: 1-line block ×4, first 2 shown]
	ds_load_b128 v[129:132], v139 offset:1216
	v_fmac_f32_e32 v77, v144, v157
	v_fmac_f32_e32 v79, v144, v159
	ds_load_b128 v[157:160], v139 offset:1248
	s_wait_dscnt 0x2
	v_fmac_f32_e32 v73, v144, v149
	v_fmac_f32_e32 v74, v144, v150
	;; [unrolled: 1-line block ×4, first 2 shown]
	ds_load_b128 v[149:152], v139 offset:256
	v_fmac_f32_e32 v143, v133, v65
	v_mul_f32_e32 v65, v65, v153
	s_delay_alu instid0(VALU_DEP_2) | instskip(NEXT) | instid1(VALU_DEP_1)
	v_fmac_f32_e32 v143, v134, v66
	v_dual_mul_f32 v66, v66, v154 :: v_dual_fmac_f32 v143, v135, v67
	s_wait_dscnt 0x2
	v_fmac_f32_e32 v81, v144, v129
	v_fmac_f32_e32 v82, v144, v130
	;; [unrolled: 1-line block ×5, first 2 shown]
	ds_load_b128 v[129:132], v139 offset:1264
	s_wait_dscnt 0x2
	v_fmac_f32_e32 v69, v144, v157
	v_fmac_f32_e32 v70, v144, v158
	;; [unrolled: 1-line block ×4, first 2 shown]
	ds_load_b128 v[157:160], v139 offset:2304
	v_dual_mul_f32 v67, v67, v155 :: v_dual_mul_f32 v68, v68, v156
	ds_load_b128 v[153:156], v139 offset:272
	s_wait_dscnt 0x3
	v_fmac_f32_e32 v143, v149, v61
	ds_load_b128 v[133:136], v139 offset:1280
	v_fmac_f32_e32 v143, v150, v62
	s_delay_alu instid0(VALU_DEP_1)
	v_fmac_f32_e32 v143, v151, v63
	s_wait_dscnt 0x3
	v_fmac_f32_e32 v65, v144, v129
	v_fmac_f32_e32 v66, v144, v130
	;; [unrolled: 1-line block ×5, first 2 shown]
	ds_load_b128 v[129:132], v139 offset:2320
	s_wait_dscnt 0x3
	v_dual_mul_f32 v61, v61, v157 :: v_dual_mul_f32 v62, v62, v158
	v_dual_mul_f32 v63, v63, v159 :: v_dual_mul_f32 v64, v64, v160
	ds_load_b128 v[157:160], v139 offset:288
	s_wait_dscnt 0x3
	v_fmac_f32_e32 v143, v153, v57
	ds_load_b128 v[149:152], v139 offset:1296
	s_wait_dscnt 0x3
	v_fmac_f32_e32 v61, v144, v133
	v_fmac_f32_e32 v62, v144, v134
	;; [unrolled: 1-line block ×3, first 2 shown]
	v_dual_fmac_f32 v143, v154, v58 :: v_dual_fmac_f32 v64, v144, v136
	ds_load_b128 v[133:136], v139 offset:2336
	v_fmac_f32_e32 v143, v155, v59
	s_wait_dscnt 0x3
	v_mul_f32_e32 v57, v57, v129
	s_delay_alu instid0(VALU_DEP_2)
	v_dual_fmac_f32 v143, v156, v60 :: v_dual_mul_f32 v58, v58, v130
	v_dual_mul_f32 v59, v59, v131 :: v_dual_mul_f32 v60, v60, v132
	ds_load_b128 v[129:132], v139 offset:304
	s_wait_dscnt 0x3
	v_fmac_f32_e32 v143, v157, v53
	ds_load_b128 v[153:156], v139 offset:1312
	s_wait_dscnt 0x3
	v_fmac_f32_e32 v57, v144, v149
	v_fmac_f32_e32 v58, v144, v150
	;; [unrolled: 1-line block ×3, first 2 shown]
	v_dual_fmac_f32 v143, v158, v54 :: v_dual_fmac_f32 v60, v144, v152
	ds_load_b128 v[149:152], v139 offset:2352
	s_wait_dscnt 0x3
	v_dual_mul_f32 v53, v53, v133 :: v_dual_mul_f32 v54, v54, v134
	v_fmac_f32_e32 v143, v159, v55
	v_mul_f32_e32 v55, v55, v135
	s_delay_alu instid0(VALU_DEP_2)
	v_fmac_f32_e32 v143, v160, v56
	v_mul_f32_e32 v56, v56, v136
	ds_load_b128 v[133:136], v139 offset:320
	ds_load_b128 v[157:160], v139 offset:1328
	s_wait_dscnt 0x4
	v_fmac_f32_e32 v143, v129, v49
	s_wait_dscnt 0x3
	v_fmac_f32_e32 v53, v144, v153
	v_fmac_f32_e32 v54, v144, v154
	;; [unrolled: 1-line block ×3, first 2 shown]
	v_dual_fmac_f32 v56, v144, v156 :: v_dual_fmac_f32 v143, v130, v50
	ds_load_b128 v[153:156], v139 offset:2368
	s_wait_dscnt 0x3
	v_dual_mul_f32 v49, v49, v149 :: v_dual_mul_f32 v50, v50, v150
	v_fmac_f32_e32 v143, v131, v51
	v_mul_f32_e32 v51, v51, v151
	s_delay_alu instid0(VALU_DEP_2)
	v_fmac_f32_e32 v143, v132, v52
	v_mul_f32_e32 v52, v52, v152
	ds_load_b128 v[149:152], v139 offset:336
	ds_load_b128 v[129:132], v139 offset:1344
	s_wait_dscnt 0x3
	v_fmac_f32_e32 v49, v144, v157
	v_dual_fmac_f32 v143, v133, v45 :: v_dual_fmac_f32 v50, v144, v158
	v_fmac_f32_e32 v51, v144, v159
	v_fmac_f32_e32 v52, v144, v160
	ds_load_b128 v[157:160], v139 offset:2384
	v_fmac_f32_e32 v143, v134, v46
	s_wait_dscnt 0x3
	v_dual_mul_f32 v45, v45, v153 :: v_dual_mul_f32 v46, v46, v154
	s_delay_alu instid0(VALU_DEP_2) | instskip(SKIP_1) | instid1(VALU_DEP_2)
	v_fmac_f32_e32 v143, v135, v47
	v_mul_f32_e32 v47, v47, v155
	v_fmac_f32_e32 v143, v136, v48
	v_mul_f32_e32 v48, v48, v156
	ds_load_b128 v[153:156], v139 offset:352
	ds_load_b128 v[133:136], v139 offset:1360
	s_wait_dscnt 0x3
	v_fmac_f32_e32 v45, v144, v129
	v_dual_fmac_f32 v143, v149, v41 :: v_dual_fmac_f32 v46, v144, v130
	v_fmac_f32_e32 v47, v144, v131
	v_fmac_f32_e32 v48, v144, v132
	ds_load_b128 v[129:132], v139 offset:2400
	v_fmac_f32_e32 v143, v150, v42
	s_wait_dscnt 0x3
	v_dual_mul_f32 v41, v41, v157 :: v_dual_mul_f32 v42, v42, v158
	s_delay_alu instid0(VALU_DEP_2) | instskip(SKIP_1) | instid1(VALU_DEP_2)
	v_fmac_f32_e32 v143, v151, v43
	v_mul_f32_e32 v43, v43, v159
	;; [unrolled: 16-line block ×7, first 2 shown]
	v_fmac_f32_e32 v143, v152, v24
	ds_load_b128 v[149:152], v139 offset:1456
	v_mul_f32_e32 v24, v24, v160
	ds_load_b128 v[157:160], v139 offset:448
	s_wait_dscnt 0x3
	v_dual_fmac_f32 v22, v144, v134 :: v_dual_fmac_f32 v143, v153, v17
	v_fmac_f32_e32 v21, v144, v133
	v_fmac_f32_e32 v24, v144, v136
	;; [unrolled: 1-line block ×3, first 2 shown]
	ds_load_b128 v[133:136], v139 offset:2496
	v_fmac_f32_e32 v143, v154, v18
	s_wait_dscnt 0x3
	s_delay_alu instid0(VALU_DEP_1) | instskip(SKIP_1) | instid1(VALU_DEP_2)
	v_dual_mul_f32 v18, v18, v130 :: v_dual_fmac_f32 v143, v155, v19
	v_mul_f32_e32 v19, v19, v131
	v_fmac_f32_e32 v143, v156, v20
	ds_load_b128 v[153:156], v139 offset:1472
	v_mul_f32_e32 v20, v20, v132
	s_wait_dscnt 0x3
	v_dual_fmac_f32 v18, v144, v150 :: v_dual_mul_f32 v17, v17, v129
	ds_load_b128 v[129:132], v139 offset:464
	s_wait_dscnt 0x3
	v_fmac_f32_e32 v143, v157, v13
	v_fmac_f32_e32 v19, v144, v151
	;; [unrolled: 1-line block ×4, first 2 shown]
	ds_load_b128 v[149:152], v139 offset:2512
	v_fmac_f32_e32 v143, v158, v14
	s_wait_dscnt 0x3
	s_delay_alu instid0(VALU_DEP_1) | instskip(SKIP_1) | instid1(VALU_DEP_2)
	v_dual_mul_f32 v14, v14, v134 :: v_dual_fmac_f32 v143, v159, v15
	v_mul_f32_e32 v15, v15, v135
	v_fmac_f32_e32 v143, v160, v16
	v_mul_f32_e32 v16, v16, v136
	ds_load_b128 v[157:160], v139 offset:1488
	s_wait_dscnt 0x3
	v_fmac_f32_e32 v14, v144, v154
	v_dual_fmac_f32 v16, v144, v156 :: v_dual_mul_f32 v13, v13, v133
	ds_load_b128 v[133:136], v139 offset:480
	s_wait_dscnt 0x3
	v_fmac_f32_e32 v143, v129, v9
	s_wait_dscnt 0x2
	v_mul_f32_e32 v9, v9, v149
	s_delay_alu instid0(VALU_DEP_2) | instskip(NEXT) | instid1(VALU_DEP_1)
	v_fmac_f32_e32 v143, v130, v10
	v_dual_mul_f32 v10, v10, v150 :: v_dual_fmac_f32 v143, v131, v11
	s_wait_dscnt 0x1
	s_delay_alu instid0(VALU_DEP_1) | instskip(SKIP_1) | instid1(VALU_DEP_3)
	v_dual_mul_f32 v11, v11, v151 :: v_dual_fmac_f32 v10, v144, v158
	v_fmac_f32_e32 v13, v144, v153
	v_fmac_f32_e32 v143, v132, v12
	v_mul_f32_e32 v12, v12, v152
	ds_load_b128 v[149:152], v139 offset:496
	ds_load_b128 v[129:132], v139 offset:2544
	s_wait_dscnt 0x2
	v_dual_fmac_f32 v143, v133, v5 :: v_dual_fmac_f32 v12, v144, v160
	v_fmac_f32_e32 v15, v144, v155
	ds_load_b128 v[153:156], v139 offset:2528
	v_fmac_f32_e32 v143, v134, v6
	s_delay_alu instid0(VALU_DEP_1) | instskip(NEXT) | instid1(VALU_DEP_1)
	v_fmac_f32_e32 v143, v135, v7
	v_fmac_f32_e32 v143, v136, v8
	ds_load_b128 v[133:136], v139 offset:1520
	s_wait_dscnt 0x1
	v_dual_mul_f32 v5, v5, v153 :: v_dual_mul_f32 v6, v6, v154
	v_dual_mul_f32 v7, v7, v155 :: v_dual_mul_f32 v8, v8, v156
	ds_load_b128 v[153:156], v139 offset:512
	v_fmac_f32_e32 v143, v149, v1
	s_delay_alu instid0(VALU_DEP_1) | instskip(NEXT) | instid1(VALU_DEP_1)
	v_fmac_f32_e32 v143, v150, v2
	v_fmac_f32_e32 v143, v151, v3
	s_delay_alu instid0(VALU_DEP_1)
	v_fmac_f32_e32 v143, v152, v4
	v_fmac_f32_e32 v9, v144, v157
	;; [unrolled: 1-line block ×3, first 2 shown]
	ds_load_b128 v[157:160], v139 offset:528
	ds_load_b128 v[149:152], v139 offset:544
	s_wait_dscnt 0x2
	v_fmac_f32_e32 v125, v143, v153
	v_fmac_f32_e32 v126, v143, v154
	v_fmac_f32_e32 v127, v143, v155
	v_fmac_f32_e32 v128, v143, v156
	ds_load_b128 v[153:156], v139 offset:560
	s_wait_dscnt 0x2
	v_fmac_f32_e32 v121, v143, v157
	v_fmac_f32_e32 v122, v143, v158
	v_fmac_f32_e32 v123, v143, v159
	v_fmac_f32_e32 v124, v143, v160
	;; [unrolled: 6-line block ×27, first 2 shown]
	ds_load_b128 v[149:152], v139 offset:960
	s_wait_dscnt 0x2
	v_fmac_f32_e32 v18, v143, v154
	v_fmac_f32_e32 v20, v143, v156
	;; [unrolled: 1-line block ×3, first 2 shown]
	s_wait_dscnt 0x0
	v_fmac_f32_e32 v14, v143, v150
	v_fmac_f32_e32 v19, v143, v155
	ds_load_b128 v[153:156], v139 offset:976
	v_dual_fmac_f32 v5, v144, v161 :: v_dual_fmac_f32 v16, v143, v152
	v_fma_f32 v161, v125, v157, 0
	v_fmac_f32_e32 v6, v144, v162
	v_fmac_f32_e32 v7, v144, v163
	s_delay_alu instid0(VALU_DEP_3) | instskip(NEXT) | instid1(VALU_DEP_1)
	v_dual_fmac_f32 v8, v144, v164 :: v_dual_fmac_f32 v161, v126, v158
	v_fmac_f32_e32 v161, v127, v159
	s_delay_alu instid0(VALU_DEP_1)
	v_fmac_f32_e32 v161, v128, v160
	ds_load_b128 v[157:160], v139 offset:1568
	s_wait_dscnt 0x1
	v_fmac_f32_e32 v10, v143, v154
	v_fmac_f32_e32 v13, v143, v149
	;; [unrolled: 1-line block ×4, first 2 shown]
	ds_load_b128 v[149:152], v139 offset:1552
	v_fmac_f32_e32 v9, v143, v153
	v_fmac_f32_e32 v11, v143, v155
	ds_load_b128 v[153:156], v139 offset:992
	s_wait_dscnt 0x1
	v_fmac_f32_e32 v161, v121, v149
	s_delay_alu instid0(VALU_DEP_1) | instskip(NEXT) | instid1(VALU_DEP_1)
	v_fmac_f32_e32 v161, v122, v150
	v_fmac_f32_e32 v161, v123, v151
	s_delay_alu instid0(VALU_DEP_1) | instskip(SKIP_2) | instid1(VALU_DEP_1)
	v_fmac_f32_e32 v161, v124, v152
	ds_load_b128 v[149:152], v139 offset:1584
	v_fmac_f32_e32 v161, v117, v157
	v_fmac_f32_e32 v161, v118, v158
	s_delay_alu instid0(VALU_DEP_1) | instskip(NEXT) | instid1(VALU_DEP_1)
	v_fmac_f32_e32 v161, v119, v159
	v_fmac_f32_e32 v161, v120, v160
	ds_load_b128 v[157:160], v139 offset:1600
	s_wait_dscnt 0x1
	v_fmac_f32_e32 v161, v113, v149
	s_delay_alu instid0(VALU_DEP_1) | instskip(NEXT) | instid1(VALU_DEP_1)
	v_fmac_f32_e32 v161, v114, v150
	v_fmac_f32_e32 v161, v115, v151
	s_delay_alu instid0(VALU_DEP_1) | instskip(SKIP_3) | instid1(VALU_DEP_1)
	v_fmac_f32_e32 v161, v116, v152
	ds_load_b128 v[149:152], v139 offset:1616
	s_wait_dscnt 0x1
	v_fmac_f32_e32 v161, v109, v157
	v_fmac_f32_e32 v161, v110, v158
	s_delay_alu instid0(VALU_DEP_1) | instskip(NEXT) | instid1(VALU_DEP_1)
	v_fmac_f32_e32 v161, v111, v159
	v_fmac_f32_e32 v161, v112, v160
	ds_load_b128 v[157:160], v139 offset:1632
	s_wait_dscnt 0x1
	v_fmac_f32_e32 v161, v105, v149
	s_delay_alu instid0(VALU_DEP_1) | instskip(NEXT) | instid1(VALU_DEP_1)
	v_fmac_f32_e32 v161, v106, v150
	v_fmac_f32_e32 v161, v107, v151
	s_delay_alu instid0(VALU_DEP_1) | instskip(SKIP_3) | instid1(VALU_DEP_1)
	v_fmac_f32_e32 v161, v108, v152
	ds_load_b128 v[149:152], v139 offset:1648
	s_wait_dscnt 0x1
	;; [unrolled: 15-line block ×13, first 2 shown]
	v_fmac_f32_e32 v161, v13, v157
	v_fmac_f32_e32 v161, v14, v158
	s_delay_alu instid0(VALU_DEP_1) | instskip(NEXT) | instid1(VALU_DEP_1)
	v_fmac_f32_e32 v161, v15, v159
	v_fmac_f32_e32 v161, v16, v160
	ds_load_b128 v[157:160], v139 offset:2016
	s_wait_dscnt 0x1
	v_fmac_f32_e32 v161, v9, v149
	s_delay_alu instid0(VALU_DEP_1) | instskip(NEXT) | instid1(VALU_DEP_1)
	v_fmac_f32_e32 v161, v10, v150
	v_fmac_f32_e32 v161, v11, v151
	s_delay_alu instid0(VALU_DEP_1)
	v_fmac_f32_e32 v161, v12, v152
	ds_load_b128 v[149:152], v139 offset:1008
	v_fmac_f32_e32 v5, v143, v153
	v_fmac_f32_e32 v6, v143, v154
	;; [unrolled: 1-line block ×4, first 2 shown]
	ds_load_b128 v[153:156], v139 offset:2032
	s_wait_dscnt 0x2
	v_fmac_f32_e32 v161, v5, v157
	v_dual_mul_f32 v1, v1, v129 :: v_dual_mul_f32 v2, v2, v130
	v_dual_mul_f32 v3, v3, v131 :: v_dual_mul_f32 v4, v4, v132
	s_delay_alu instid0(VALU_DEP_3) | instskip(NEXT) | instid1(VALU_DEP_3)
	v_fmac_f32_e32 v161, v6, v158
	v_fmac_f32_e32 v1, v144, v133
	s_delay_alu instid0(VALU_DEP_4) | instskip(NEXT) | instid1(VALU_DEP_4)
	v_fmac_f32_e32 v2, v144, v134
	v_fmac_f32_e32 v3, v144, v135
	s_delay_alu instid0(VALU_DEP_4)
	v_dual_fmac_f32 v4, v144, v136 :: v_dual_fmac_f32 v161, v7, v159
	v_add_co_u32 v129, vcc_lo, s18, v141
	s_wait_alu 0xfffd
	v_add_co_ci_u32_e64 v130, null, s19, v142, vcc_lo
	s_wait_dscnt 0x1
	v_fmac_f32_e32 v1, v143, v149
	v_dual_fmac_f32 v161, v8, v160 :: v_dual_fmac_f32 v2, v143, v150
	v_fmac_f32_e32 v3, v143, v151
	v_fmac_f32_e32 v4, v143, v152
	s_wait_alu 0xfffe
	v_add_co_u32 v141, vcc_lo, v141, s2
	s_wait_dscnt 0x0
	v_fmac_f32_e32 v161, v1, v153
	s_wait_alu 0xfffd
	v_add_co_ci_u32_e64 v142, null, s3, v142, vcc_lo
	s_delay_alu instid0(VALU_DEP_2) | instskip(NEXT) | instid1(VALU_DEP_1)
	v_fmac_f32_e32 v161, v2, v154
	v_fmac_f32_e32 v161, v3, v155
	s_delay_alu instid0(VALU_DEP_1)
	v_fmac_f32_e32 v161, v4, v156
	global_store_b32 v[129:130], v161, off
	s_and_not1_b32 exec_lo, exec_lo, s16
	s_cbranch_execnz .LBB3_2
; %bb.3:
	s_or_b32 exec_lo, exec_lo, s16
.LBB3_4:
	s_wait_alu 0xfffe
	s_or_b32 exec_lo, exec_lo, s1
	v_mad_co_u64_u32 v[129:130], null, s22, s21, v[137:138]
	s_delay_alu instid0(VALU_DEP_1) | instskip(NEXT) | instid1(VALU_DEP_1)
	v_ashrrev_i32_e32 v130, 31, v129
	v_lshlrev_b64_e32 v[129:130], 2, v[129:130]
	s_delay_alu instid0(VALU_DEP_1) | instskip(SKIP_1) | instid1(VALU_DEP_2)
	v_add_co_u32 v129, vcc_lo, s18, v129
	s_wait_alu 0xfffd
	v_add_co_ci_u32_e64 v130, null, s19, v130, vcc_lo
	s_wait_loadcnt 0x1f
	global_store_b128 v[129:130], v[125:128], off
	s_wait_loadcnt 0x1e
	global_store_b128 v[129:130], v[121:124], off offset:16
	s_wait_loadcnt 0x1d
	global_store_b128 v[129:130], v[117:120], off offset:32
	;; [unrolled: 2-line block ×31, first 2 shown]
	s_nop 0
	s_sendmsg sendmsg(MSG_DEALLOC_VGPRS)
	s_endpgm
	.section	.rodata,"a",@progbits
	.p2align	6, 0x0
	.amdhsa_kernel _ZL13rwkv_wkv7_f32ILi128EEviiiiPKfS1_S1_S1_S1_S1_S1_Pf
		.amdhsa_group_segment_fixed_size 2560
		.amdhsa_private_segment_fixed_size 0
		.amdhsa_kernarg_size 80
		.amdhsa_user_sgpr_count 2
		.amdhsa_user_sgpr_dispatch_ptr 0
		.amdhsa_user_sgpr_queue_ptr 0
		.amdhsa_user_sgpr_kernarg_segment_ptr 1
		.amdhsa_user_sgpr_dispatch_id 0
		.amdhsa_user_sgpr_private_segment_size 0
		.amdhsa_wavefront_size32 1
		.amdhsa_uses_dynamic_stack 0
		.amdhsa_enable_private_segment 0
		.amdhsa_system_sgpr_workgroup_id_x 1
		.amdhsa_system_sgpr_workgroup_id_y 0
		.amdhsa_system_sgpr_workgroup_id_z 0
		.amdhsa_system_sgpr_workgroup_info 0
		.amdhsa_system_vgpr_workitem_id 0
		.amdhsa_next_free_vgpr 165
		.amdhsa_next_free_sgpr 25
		.amdhsa_reserve_vcc 1
		.amdhsa_float_round_mode_32 0
		.amdhsa_float_round_mode_16_64 0
		.amdhsa_float_denorm_mode_32 3
		.amdhsa_float_denorm_mode_16_64 3
		.amdhsa_fp16_overflow 0
		.amdhsa_workgroup_processor_mode 1
		.amdhsa_memory_ordered 1
		.amdhsa_forward_progress 1
		.amdhsa_inst_pref_size 53
		.amdhsa_round_robin_scheduling 0
		.amdhsa_exception_fp_ieee_invalid_op 0
		.amdhsa_exception_fp_denorm_src 0
		.amdhsa_exception_fp_ieee_div_zero 0
		.amdhsa_exception_fp_ieee_overflow 0
		.amdhsa_exception_fp_ieee_underflow 0
		.amdhsa_exception_fp_ieee_inexact 0
		.amdhsa_exception_int_div_zero 0
	.end_amdhsa_kernel
	.section	.text._ZL13rwkv_wkv7_f32ILi128EEviiiiPKfS1_S1_S1_S1_S1_S1_Pf,"axG",@progbits,_ZL13rwkv_wkv7_f32ILi128EEviiiiPKfS1_S1_S1_S1_S1_S1_Pf,comdat
.Lfunc_end3:
	.size	_ZL13rwkv_wkv7_f32ILi128EEviiiiPKfS1_S1_S1_S1_S1_S1_Pf, .Lfunc_end3-_ZL13rwkv_wkv7_f32ILi128EEviiiiPKfS1_S1_S1_S1_S1_S1_Pf
                                        ; -- End function
	.set _ZL13rwkv_wkv7_f32ILi128EEviiiiPKfS1_S1_S1_S1_S1_S1_Pf.num_vgpr, 165
	.set _ZL13rwkv_wkv7_f32ILi128EEviiiiPKfS1_S1_S1_S1_S1_S1_Pf.num_agpr, 0
	.set _ZL13rwkv_wkv7_f32ILi128EEviiiiPKfS1_S1_S1_S1_S1_S1_Pf.numbered_sgpr, 25
	.set _ZL13rwkv_wkv7_f32ILi128EEviiiiPKfS1_S1_S1_S1_S1_S1_Pf.num_named_barrier, 0
	.set _ZL13rwkv_wkv7_f32ILi128EEviiiiPKfS1_S1_S1_S1_S1_S1_Pf.private_seg_size, 0
	.set _ZL13rwkv_wkv7_f32ILi128EEviiiiPKfS1_S1_S1_S1_S1_S1_Pf.uses_vcc, 1
	.set _ZL13rwkv_wkv7_f32ILi128EEviiiiPKfS1_S1_S1_S1_S1_S1_Pf.uses_flat_scratch, 0
	.set _ZL13rwkv_wkv7_f32ILi128EEviiiiPKfS1_S1_S1_S1_S1_S1_Pf.has_dyn_sized_stack, 0
	.set _ZL13rwkv_wkv7_f32ILi128EEviiiiPKfS1_S1_S1_S1_S1_S1_Pf.has_recursion, 0
	.set _ZL13rwkv_wkv7_f32ILi128EEviiiiPKfS1_S1_S1_S1_S1_S1_Pf.has_indirect_call, 0
	.section	.AMDGPU.csdata,"",@progbits
; Kernel info:
; codeLenInByte = 6664
; TotalNumSgprs: 27
; NumVgprs: 165
; ScratchSize: 0
; MemoryBound: 0
; FloatMode: 240
; IeeeMode: 1
; LDSByteSize: 2560 bytes/workgroup (compile time only)
; SGPRBlocks: 0
; VGPRBlocks: 20
; NumSGPRsForWavesPerEU: 27
; NumVGPRsForWavesPerEU: 165
; Occupancy: 9
; WaveLimiterHint : 0
; COMPUTE_PGM_RSRC2:SCRATCH_EN: 0
; COMPUTE_PGM_RSRC2:USER_SGPR: 2
; COMPUTE_PGM_RSRC2:TRAP_HANDLER: 0
; COMPUTE_PGM_RSRC2:TGID_X_EN: 1
; COMPUTE_PGM_RSRC2:TGID_Y_EN: 0
; COMPUTE_PGM_RSRC2:TGID_Z_EN: 0
; COMPUTE_PGM_RSRC2:TIDIG_COMP_CNT: 0
	.section	.AMDGPU.gpr_maximums,"",@progbits
	.set amdgpu.max_num_vgpr, 0
	.set amdgpu.max_num_agpr, 0
	.set amdgpu.max_num_sgpr, 0
	.section	.AMDGPU.csdata,"",@progbits
	.type	__hip_cuid_25736edff656ab63,@object ; @__hip_cuid_25736edff656ab63
	.section	.bss,"aw",@nobits
	.globl	__hip_cuid_25736edff656ab63
__hip_cuid_25736edff656ab63:
	.byte	0                               ; 0x0
	.size	__hip_cuid_25736edff656ab63, 1

	.ident	"AMD clang version 22.0.0git (https://github.com/RadeonOpenCompute/llvm-project roc-7.2.4 26084 f58b06dce1f9c15707c5f808fd002e18c2accf7e)"
	.section	".note.GNU-stack","",@progbits
	.addrsig
	.addrsig_sym __hip_cuid_25736edff656ab63
	.amdgpu_metadata
---
amdhsa.kernels:
  - .args:
      - .offset:         0
        .size:           4
        .value_kind:     by_value
      - .offset:         4
        .size:           4
        .value_kind:     by_value
      - .offset:         8
        .size:           4
        .value_kind:     by_value
      - .offset:         12
        .size:           4
        .value_kind:     by_value
      - .address_space:  global
        .offset:         16
        .size:           8
        .value_kind:     global_buffer
      - .address_space:  global
        .offset:         24
        .size:           8
        .value_kind:     global_buffer
      - .address_space:  global
        .offset:         32
        .size:           8
        .value_kind:     global_buffer
      - .address_space:  global
        .offset:         40
        .size:           8
        .value_kind:     global_buffer
      - .address_space:  global
        .offset:         48
        .size:           8
        .value_kind:     global_buffer
      - .address_space:  global
        .offset:         56
        .size:           8
        .value_kind:     global_buffer
      - .address_space:  global
        .offset:         64
        .size:           8
        .value_kind:     global_buffer
    .group_segment_fixed_size: 1024
    .kernarg_segment_align: 8
    .kernarg_segment_size: 72
    .language:       OpenCL C
    .language_version:
      - 2
      - 0
    .max_flat_workgroup_size: 1024
    .name:           _ZL12rwkv_wkv_f32ILi64EEviiiiPKfS1_S1_S1_S1_S1_Pf
    .private_segment_fixed_size: 0
    .sgpr_count:     26
    .sgpr_spill_count: 0
    .symbol:         _ZL12rwkv_wkv_f32ILi64EEviiiiPKfS1_S1_S1_S1_S1_Pf.kd
    .uniform_work_group_size: 1
    .uses_dynamic_stack: false
    .vgpr_count:     164
    .vgpr_spill_count: 0
    .wavefront_size: 32
    .workgroup_processor_mode: 1
  - .args:
      - .offset:         0
        .size:           4
        .value_kind:     by_value
      - .offset:         4
        .size:           4
        .value_kind:     by_value
      - .offset:         8
        .size:           4
        .value_kind:     by_value
      - .offset:         12
        .size:           4
        .value_kind:     by_value
      - .address_space:  global
        .offset:         16
        .size:           8
        .value_kind:     global_buffer
      - .address_space:  global
        .offset:         24
        .size:           8
        .value_kind:     global_buffer
      - .address_space:  global
        .offset:         32
        .size:           8
        .value_kind:     global_buffer
      - .address_space:  global
        .offset:         40
        .size:           8
        .value_kind:     global_buffer
      - .address_space:  global
        .offset:         48
        .size:           8
        .value_kind:     global_buffer
      - .address_space:  global
        .offset:         56
        .size:           8
        .value_kind:     global_buffer
      - .address_space:  global
        .offset:         64
        .size:           8
        .value_kind:     global_buffer
    .group_segment_fixed_size: 2048
    .kernarg_segment_align: 8
    .kernarg_segment_size: 72
    .language:       OpenCL C
    .language_version:
      - 2
      - 0
    .max_flat_workgroup_size: 1024
    .name:           _ZL12rwkv_wkv_f32ILi128EEviiiiPKfS1_S1_S1_S1_S1_Pf
    .private_segment_fixed_size: 312
    .sgpr_count:     26
    .sgpr_spill_count: 0
    .symbol:         _ZL12rwkv_wkv_f32ILi128EEviiiiPKfS1_S1_S1_S1_S1_Pf.kd
    .uniform_work_group_size: 1
    .uses_dynamic_stack: false
    .vgpr_count:     192
    .vgpr_spill_count: 77
    .wavefront_size: 32
    .workgroup_processor_mode: 1
  - .args:
      - .offset:         0
        .size:           4
        .value_kind:     by_value
      - .offset:         4
        .size:           4
        .value_kind:     by_value
      - .offset:         8
        .size:           4
        .value_kind:     by_value
      - .offset:         12
        .size:           4
        .value_kind:     by_value
      - .address_space:  global
        .offset:         16
        .size:           8
        .value_kind:     global_buffer
      - .address_space:  global
        .offset:         24
        .size:           8
        .value_kind:     global_buffer
      - .address_space:  global
        .offset:         32
        .size:           8
        .value_kind:     global_buffer
      - .address_space:  global
        .offset:         40
        .size:           8
        .value_kind:     global_buffer
      - .address_space:  global
        .offset:         48
        .size:           8
        .value_kind:     global_buffer
      - .address_space:  global
        .offset:         56
        .size:           8
        .value_kind:     global_buffer
      - .address_space:  global
        .offset:         64
        .size:           8
        .value_kind:     global_buffer
      - .address_space:  global
        .offset:         72
        .size:           8
        .value_kind:     global_buffer
    .group_segment_fixed_size: 1280
    .kernarg_segment_align: 8
    .kernarg_segment_size: 80
    .language:       OpenCL C
    .language_version:
      - 2
      - 0
    .max_flat_workgroup_size: 1024
    .name:           _ZL13rwkv_wkv7_f32ILi64EEviiiiPKfS1_S1_S1_S1_S1_S1_Pf
    .private_segment_fixed_size: 0
    .sgpr_count:     27
    .sgpr_spill_count: 0
    .symbol:         _ZL13rwkv_wkv7_f32ILi64EEviiiiPKfS1_S1_S1_S1_S1_S1_Pf.kd
    .uniform_work_group_size: 1
    .uses_dynamic_stack: false
    .vgpr_count:     94
    .vgpr_spill_count: 0
    .wavefront_size: 32
    .workgroup_processor_mode: 1
  - .args:
      - .offset:         0
        .size:           4
        .value_kind:     by_value
      - .offset:         4
        .size:           4
        .value_kind:     by_value
      - .offset:         8
        .size:           4
        .value_kind:     by_value
      - .offset:         12
        .size:           4
        .value_kind:     by_value
      - .address_space:  global
        .offset:         16
        .size:           8
        .value_kind:     global_buffer
      - .address_space:  global
        .offset:         24
        .size:           8
        .value_kind:     global_buffer
      - .address_space:  global
        .offset:         32
        .size:           8
        .value_kind:     global_buffer
      - .address_space:  global
        .offset:         40
        .size:           8
        .value_kind:     global_buffer
      - .address_space:  global
        .offset:         48
        .size:           8
        .value_kind:     global_buffer
      - .address_space:  global
        .offset:         56
        .size:           8
        .value_kind:     global_buffer
      - .address_space:  global
        .offset:         64
        .size:           8
        .value_kind:     global_buffer
      - .address_space:  global
        .offset:         72
        .size:           8
        .value_kind:     global_buffer
    .group_segment_fixed_size: 2560
    .kernarg_segment_align: 8
    .kernarg_segment_size: 80
    .language:       OpenCL C
    .language_version:
      - 2
      - 0
    .max_flat_workgroup_size: 1024
    .name:           _ZL13rwkv_wkv7_f32ILi128EEviiiiPKfS1_S1_S1_S1_S1_S1_Pf
    .private_segment_fixed_size: 0
    .sgpr_count:     27
    .sgpr_spill_count: 0
    .symbol:         _ZL13rwkv_wkv7_f32ILi128EEviiiiPKfS1_S1_S1_S1_S1_S1_Pf.kd
    .uniform_work_group_size: 1
    .uses_dynamic_stack: false
    .vgpr_count:     165
    .vgpr_spill_count: 0
    .wavefront_size: 32
    .workgroup_processor_mode: 1
amdhsa.target:   amdgcn-amd-amdhsa--gfx1201
amdhsa.version:
  - 1
  - 2
...

	.end_amdgpu_metadata
